;; amdgpu-corpus repo=ROCm/rocFFT kind=compiled arch=gfx950 opt=O3
	.text
	.amdgcn_target "amdgcn-amd-amdhsa--gfx950"
	.amdhsa_code_object_version 6
	.protected	bluestein_single_fwd_len546_dim1_sp_op_CI_CI ; -- Begin function bluestein_single_fwd_len546_dim1_sp_op_CI_CI
	.globl	bluestein_single_fwd_len546_dim1_sp_op_CI_CI
	.p2align	8
	.type	bluestein_single_fwd_len546_dim1_sp_op_CI_CI,@function
bluestein_single_fwd_len546_dim1_sp_op_CI_CI: ; @bluestein_single_fwd_len546_dim1_sp_op_CI_CI
; %bb.0:
	s_load_dwordx4 s[8:11], s[0:1], 0x28
	v_mul_u32_u24_e32 v1, 0x691, v0
	v_lshrrev_b32_e32 v2, 16, v1
	v_mad_u64_u32 v[100:101], s[2:3], s2, 3, v[2:3]
	v_mov_b32_e32 v93, 0
	v_mov_b32_e32 v101, v93
	s_waitcnt lgkmcnt(0)
	v_cmp_gt_u64_e32 vcc, s[8:9], v[100:101]
	s_and_saveexec_b64 s[2:3], vcc
	s_cbranch_execz .LBB0_23
; %bb.1:
	s_load_dwordx4 s[4:7], s[0:1], 0x18
	s_load_dwordx2 s[16:17], s[0:1], 0x0
	v_mul_lo_u16_e32 v1, 39, v2
	v_sub_u16_e32 v92, v0, v1
	v_mov_b32_e32 v4, s10
	s_waitcnt lgkmcnt(0)
	s_load_dwordx4 s[12:15], s[4:5], 0x0
	v_mov_b32_e32 v5, s11
	s_mov_b32 s4, 0xaaaaaaab
	v_mul_hi_u32 v30, v100, s4
	v_lshrrev_b32_e32 v30, 1, v30
	s_waitcnt lgkmcnt(0)
	v_mad_u64_u32 v[0:1], s[2:3], s14, v100, 0
	v_mov_b32_e32 v2, v1
	v_mad_u64_u32 v[2:3], s[2:3], s15, v100, v[2:3]
	v_mov_b32_e32 v1, v2
	;; [unrolled: 2-line block ×3, first 2 shown]
	v_mad_u64_u32 v[6:7], s[2:3], s13, v92, v[6:7]
	s_mul_i32 s2, s13, 42
	s_mul_hi_u32 s3, s12, 42
	v_mov_b32_e32 v3, v6
	v_lshl_add_u64 v[0:1], v[0:1], 3, v[4:5]
	s_add_i32 s3, s3, s2
	s_mul_i32 s2, s12, 42
	v_lshl_add_u64 v[0:1], v[2:3], 3, v[0:1]
	v_lshlrev_b32_e32 v2, 3, v92
	s_lshl_b64 s[2:3], s[2:3], 3
	global_load_dwordx2 v[110:111], v2, s[16:17]
	global_load_dwordx2 v[4:5], v[0:1], off
	v_lshl_add_u64 v[0:1], v[0:1], 0, s[2:3]
	global_load_dwordx2 v[6:7], v[0:1], off
	global_load_dwordx2 v[108:109], v2, s[16:17] offset:336
	v_lshl_add_u64 v[0:1], v[0:1], 0, s[2:3]
	global_load_dwordx2 v[106:107], v2, s[16:17] offset:672
	global_load_dwordx2 v[8:9], v[0:1], off
	v_lshl_add_u64 v[0:1], v[0:1], 0, s[2:3]
	global_load_dwordx2 v[10:11], v[0:1], off
	global_load_dwordx2 v[104:105], v2, s[16:17] offset:1008
	v_lshl_add_u64 v[0:1], v[0:1], 0, s[2:3]
	global_load_dwordx2 v[12:13], v[0:1], off
	global_load_dwordx2 v[102:103], v2, s[16:17] offset:1344
	;; [unrolled: 3-line block ×4, first 2 shown]
	v_lshl_add_u64 v[0:1], v[0:1], 0, s[2:3]
	global_load_dwordx2 v[94:95], v2, s[16:17] offset:2352
	global_load_dwordx2 v[18:19], v[0:1], off
	v_lshl_add_u64 v[0:1], v[0:1], 0, s[2:3]
	global_load_dwordx2 v[20:21], v[0:1], off
	global_load_dwordx2 v[90:91], v2, s[16:17] offset:2688
	v_lshl_add_u64 v[0:1], v[0:1], 0, s[2:3]
	global_load_dwordx2 v[22:23], v[0:1], off
	global_load_dwordx2 v[88:89], v2, s[16:17] offset:3024
	;; [unrolled: 3-line block ×3, first 2 shown]
	global_load_dwordx2 v[84:85], v2, s[16:17] offset:3696
	v_lshl_add_u64 v[0:1], v[0:1], 0, s[2:3]
	global_load_dwordx2 v[26:27], v[0:1], off
	global_load_dwordx2 v[82:83], v2, s[16:17] offset:4032
	v_lshl_add_u64 v[0:1], v[0:1], 0, s[2:3]
	global_load_dwordx2 v[28:29], v[0:1], off
	v_lshl_add_u32 v30, v30, 1, v30
	v_sub_u32_e32 v30, v100, v30
	v_mul_u32_u24_e32 v30, 0x222, v30
	v_mov_b32_e32 v3, v93
	v_lshlrev_b32_e32 v191, 3, v30
	v_lshl_add_u64 v[80:81], s[16:17], 0, v[2:3]
	v_add_u32_e32 v101, v2, v191
	s_load_dwordx2 s[14:15], s[0:1], 0x38
	s_load_dwordx4 s[8:11], s[6:7], 0x0
	v_cmp_gt_u16_e64 s[4:5], 3, v92
	s_waitcnt vmcnt(24)
	v_mul_f32_e32 v2, v5, v111
	v_mul_f32_e32 v3, v4, v111
	v_fmac_f32_e32 v2, v4, v110
	v_fma_f32 v3, v5, v110, -v3
	s_waitcnt vmcnt(22)
	v_mul_f32_e32 v4, v7, v109
	v_mul_f32_e32 v5, v6, v109
	v_fmac_f32_e32 v4, v6, v108
	v_fma_f32 v5, v7, v108, -v5
	s_waitcnt vmcnt(20)
	v_mul_f32_e32 v6, v9, v107
	v_mul_f32_e32 v7, v8, v107
	ds_write2_b64 v101, v[2:3], v[4:5] offset1:42
	s_waitcnt vmcnt(18)
	v_mul_f32_e32 v2, v11, v105
	v_mul_f32_e32 v3, v10, v105
	v_fmac_f32_e32 v6, v8, v106
	v_fma_f32 v7, v9, v106, -v7
	v_fmac_f32_e32 v2, v10, v104
	v_fma_f32 v3, v11, v104, -v3
	s_waitcnt vmcnt(16)
	v_mul_f32_e32 v4, v13, v103
	v_mul_f32_e32 v5, v12, v103
	ds_write2_b64 v101, v[6:7], v[2:3] offset0:84 offset1:126
	s_waitcnt vmcnt(14)
	v_mul_f32_e32 v2, v15, v99
	v_mul_f32_e32 v3, v14, v99
	v_fmac_f32_e32 v4, v12, v102
	v_fma_f32 v5, v13, v102, -v5
	v_fmac_f32_e32 v2, v14, v98
	v_fma_f32 v3, v15, v98, -v3
	ds_write2_b64 v101, v[4:5], v[2:3] offset0:168 offset1:210
	s_waitcnt vmcnt(12)
	v_mul_f32_e32 v2, v17, v97
	v_mul_f32_e32 v3, v16, v97
	s_waitcnt vmcnt(10)
	v_mul_f32_e32 v6, v19, v95
	v_mul_f32_e32 v4, v18, v95
	v_fmac_f32_e32 v2, v16, v96
	v_fma_f32 v3, v17, v96, -v3
	v_fmac_f32_e32 v6, v18, v94
	v_fma_f32 v7, v19, v94, -v4
	v_add_u32_e32 v4, 0x400, v101
	ds_write2_b64 v4, v[2:3], v[6:7] offset0:124 offset1:166
	s_waitcnt vmcnt(8)
	v_mul_f32_e32 v2, v21, v91
	v_mul_f32_e32 v3, v20, v91
	s_waitcnt vmcnt(6)
	v_mul_f32_e32 v6, v23, v89
	v_mul_f32_e32 v5, v22, v89
	v_fmac_f32_e32 v2, v20, v90
	v_fma_f32 v3, v21, v90, -v3
	v_fmac_f32_e32 v6, v22, v88
	v_fma_f32 v7, v23, v88, -v5
	v_add_u32_e32 v8, 0x800, v101
	ds_write2_b64 v8, v[2:3], v[6:7] offset0:80 offset1:122
	s_waitcnt vmcnt(4)
	v_mul_f32_e32 v2, v25, v87
	v_mul_f32_e32 v3, v24, v87
	s_waitcnt vmcnt(2)
	v_mul_f32_e32 v6, v27, v85
	v_mul_f32_e32 v5, v26, v85
	v_fmac_f32_e32 v2, v24, v86
	v_fma_f32 v3, v25, v86, -v3
	v_fmac_f32_e32 v6, v26, v84
	v_fma_f32 v7, v27, v84, -v5
	ds_write2_b64 v8, v[2:3], v[6:7] offset0:164 offset1:206
	s_waitcnt vmcnt(0)
	v_mul_f32_e32 v2, v29, v83
	v_mul_f32_e32 v3, v28, v83
	v_fmac_f32_e32 v2, v28, v82
	v_fma_f32 v3, v29, v82, -v3
	ds_write_b64 v101, v[2:3] offset:4032
	s_and_saveexec_b64 s[6:7], s[4:5]
	s_cbranch_execz .LBB0_3
; %bb.2:
	v_mov_b32_e32 v2, 0xfffff178
	s_mulk_i32 s13, 0xf178
	v_mad_u64_u32 v[0:1], s[18:19], s12, v2, v[0:1]
	s_sub_i32 s12, s13, s12
	v_add_u32_e32 v1, s12, v1
	global_load_dwordx2 v[2:3], v[0:1], off
	global_load_dwordx2 v[6:7], v[80:81], off offset:312
	v_lshl_add_u64 v[0:1], v[0:1], 0, s[2:3]
	global_load_dwordx2 v[10:11], v[0:1], off
	global_load_dwordx2 v[12:13], v[80:81], off offset:648
	v_lshl_add_u64 v[0:1], v[0:1], 0, s[2:3]
	global_load_dwordx2 v[14:15], v[0:1], off
	global_load_dwordx2 v[16:17], v[80:81], off offset:984
	global_load_dwordx2 v[18:19], v[80:81], off offset:1320
	v_lshl_add_u64 v[0:1], v[0:1], 0, s[2:3]
	global_load_dwordx2 v[20:21], v[0:1], off
	v_lshl_add_u64 v[0:1], v[0:1], 0, s[2:3]
	global_load_dwordx2 v[22:23], v[0:1], off
	global_load_dwordx2 v[24:25], v[80:81], off offset:1656
	v_lshl_add_u64 v[0:1], v[0:1], 0, s[2:3]
	global_load_dwordx2 v[26:27], v[0:1], off
	global_load_dwordx2 v[28:29], v[80:81], off offset:1992
	;; [unrolled: 3-line block ×3, first 2 shown]
	global_load_dwordx2 v[34:35], v[80:81], off offset:2664
	v_lshl_add_u64 v[0:1], v[0:1], 0, s[2:3]
	global_load_dwordx2 v[36:37], v[0:1], off
	v_lshl_add_u64 v[0:1], v[0:1], 0, s[2:3]
	global_load_dwordx2 v[38:39], v[0:1], off
	global_load_dwordx2 v[40:41], v[80:81], off offset:3000
	v_lshl_add_u64 v[0:1], v[0:1], 0, s[2:3]
	global_load_dwordx2 v[42:43], v[0:1], off
	global_load_dwordx2 v[44:45], v[80:81], off offset:3336
	global_load_dwordx2 v[46:47], v[80:81], off offset:3672
	;; [unrolled: 1-line block ×3, first 2 shown]
	v_lshl_add_u64 v[0:1], v[0:1], 0, s[2:3]
	global_load_dwordx2 v[50:51], v[0:1], off
	v_lshl_add_u64 v[0:1], v[0:1], 0, s[2:3]
	v_add_co_u32_e32 v52, vcc, 0x1000, v80
	global_load_dwordx2 v[54:55], v[0:1], off
	s_nop 0
	v_addc_co_u32_e32 v53, vcc, 0, v81, vcc
	v_lshl_add_u64 v[0:1], v[0:1], 0, s[2:3]
	global_load_dwordx2 v[52:53], v[52:53], off offset:248
	s_waitcnt vmcnt(23)
	v_mul_f32_e32 v56, v3, v7
	global_load_dwordx2 v[0:1], v[0:1], off
	v_mul_f32_e32 v5, v2, v7
	v_fmac_f32_e32 v56, v2, v6
	v_fma_f32 v57, v3, v6, -v5
	s_waitcnt vmcnt(22)
	v_mul_f32_e32 v2, v11, v13
	v_mul_f32_e32 v3, v10, v13
	v_fmac_f32_e32 v2, v10, v12
	v_fma_f32 v3, v11, v12, -v3
	s_waitcnt vmcnt(20)
	v_mul_f32_e32 v6, v15, v17
	v_mul_f32_e32 v5, v14, v17
	ds_write2_b64 v101, v[56:57], v[2:3] offset0:39 offset1:81
	s_waitcnt vmcnt(18)
	v_mul_f32_e32 v2, v21, v19
	v_mul_f32_e32 v3, v20, v19
	v_fmac_f32_e32 v6, v14, v16
	v_fma_f32 v7, v15, v16, -v5
	v_fmac_f32_e32 v2, v20, v18
	v_fma_f32 v3, v21, v18, -v3
	s_waitcnt vmcnt(16)
	v_mul_f32_e32 v10, v23, v25
	v_mul_f32_e32 v5, v22, v25
	ds_write2_b64 v101, v[6:7], v[2:3] offset0:123 offset1:165
	s_waitcnt vmcnt(14)
	v_mul_f32_e32 v2, v27, v29
	v_mul_f32_e32 v3, v26, v29
	v_fmac_f32_e32 v10, v22, v24
	v_fma_f32 v11, v23, v24, -v5
	;; [unrolled: 11-line block ×4, first 2 shown]
	v_fmac_f32_e32 v2, v42, v44
	v_fma_f32 v3, v43, v44, -v3
	ds_write2_b64 v8, v[10:11], v[2:3] offset0:119 offset1:161
	s_waitcnt vmcnt(3)
	v_mul_f32_e32 v2, v50, v47
	v_mul_f32_e32 v6, v51, v47
	v_fma_f32 v7, v51, v46, -v2
	s_waitcnt vmcnt(2)
	v_mul_f32_e32 v2, v55, v49
	v_mul_f32_e32 v3, v54, v49
	v_fmac_f32_e32 v6, v50, v46
	v_fmac_f32_e32 v2, v54, v48
	v_fma_f32 v3, v55, v48, -v3
	ds_write2_b64 v8, v[6:7], v[2:3] offset0:203 offset1:245
	s_waitcnt vmcnt(0)
	v_mul_f32_e32 v2, v1, v53
	v_fmac_f32_e32 v2, v0, v52
	v_mul_f32_e32 v0, v0, v53
	v_fma_f32 v3, v1, v52, -v0
	ds_write_b64 v101, v[2:3] offset:4344
.LBB0_3:
	s_or_b64 exec, exec, s[6:7]
	s_waitcnt lgkmcnt(0)
	s_barrier
	ds_read2_b64 v[0:3], v101 offset1:42
	ds_read2_b64 v[20:23], v101 offset0:84 offset1:126
	ds_read2_b64 v[16:19], v101 offset0:168 offset1:210
	;; [unrolled: 1-line block ×5, first 2 shown]
	ds_read_b64 v[68:69], v101 offset:4032
	v_mov_b64_e32 v[24:25], 0
                                        ; implicit-def: $vgpr30
                                        ; implicit-def: $vgpr44
                                        ; implicit-def: $vgpr42
                                        ; implicit-def: $vgpr56
                                        ; implicit-def: $vgpr38
                                        ; implicit-def: $vgpr34
	s_and_saveexec_b64 s[2:3], s[4:5]
	s_cbranch_execz .LBB0_5
; %bb.4:
	v_add_u32_e32 v36, 0x800, v101
	ds_read2_b64 v[24:27], v101 offset0:39 offset1:81
	ds_read2_b64 v[32:35], v101 offset0:123 offset1:165
	;; [unrolled: 1-line block ×6, first 2 shown]
	ds_read_b64 v[56:57], v101 offset:4344
.LBB0_5:
	s_or_b64 exec, exec, s[2:3]
	s_waitcnt lgkmcnt(6)
	v_pk_add_f32 v[52:53], v[26:27], v[24:25]
	s_waitcnt lgkmcnt(2)
	v_pk_add_f32 v[72:73], v[46:47], v[40:41]
	v_pk_add_f32 v[52:53], v[32:33], v[52:53]
	v_pk_add_f32 v[74:75], v[40:41], v[46:47] neg_lo:[0,1] neg_hi:[0,1]
	v_pk_add_f32 v[52:53], v[34:35], v[52:53]
	s_mov_b32 s2, 0xbf52af12
	v_pk_add_f32 v[40:41], v[40:41], v[52:53]
	v_pk_add_f32 v[76:77], v[44:45], v[42:43]
	;; [unrolled: 1-line block ×3, first 2 shown]
	v_pk_add_f32 v[78:79], v[42:43], v[44:45] neg_lo:[0,1] neg_hi:[0,1]
	v_pk_add_f32 v[40:41], v[28:29], v[40:41]
	s_waitcnt lgkmcnt(0)
	v_pk_add_f32 v[42:43], v[26:27], v[56:57] neg_lo:[0,1] neg_hi:[0,1]
	v_pk_add_f32 v[40:41], v[30:31], v[40:41]
	s_mov_b32 s12, 0x3f116cb1
	v_pk_add_f32 v[40:41], v[44:45], v[40:41]
	s_mov_b32 s26, 0xbe750f2a
	v_pk_add_f32 v[40:41], v[46:47], v[40:41]
	s_mov_b32 s22, 0xbf29c268
	v_pk_add_f32 v[40:41], v[36:37], v[40:41]
	s_mov_b32 s30, 0xbf788fa5
	v_pk_add_f32 v[60:61], v[38:39], v[40:41]
	v_pk_add_f32 v[40:41], v[56:57], v[26:27]
	v_pk_mul_f32 v[26:27], v[42:43], s[2:3] op_sel_hi:[1,0]
	s_mov_b32 s28, 0xbf3f9e67
	v_pk_fma_f32 v[46:47], v[40:41], s[12:13], v[26:27] op_sel:[0,0,1] op_sel_hi:[1,0,0]
	v_pk_fma_f32 v[112:113], v[40:41], s[12:13], v[26:27] op_sel:[0,0,1] op_sel_hi:[1,0,0] neg_lo:[0,0,1] neg_hi:[0,0,1]
	v_pk_mul_f32 v[26:27], v[42:43], s[26:27] op_sel_hi:[1,0]
	v_pk_add_f32 v[64:65], v[22:23], v[8:9] neg_lo:[0,1] neg_hi:[0,1]
	v_pk_fma_f32 v[126:127], v[40:41], s[30:31], v[26:27] op_sel:[0,0,1] op_sel_hi:[1,0,0] neg_lo:[0,0,1] neg_hi:[0,0,1]
	v_pk_fma_f32 v[114:115], v[40:41], s[30:31], v[26:27] op_sel:[0,0,1] op_sel_hi:[1,0,0]
	v_pk_add_f32 v[26:27], v[38:39], v[32:33]
	v_pk_add_f32 v[38:39], v[32:33], v[38:39] neg_lo:[0,1] neg_hi:[0,1]
	v_pk_mul_f32 v[32:33], v[42:43], s[22:23] op_sel_hi:[1,0]
	s_mov_b32 s6, 0xbf7e222b
	s_mov_b32 s20, 0xbf6f5d39
	v_pk_add_f32 v[66:67], v[36:37], v[34:35]
	v_pk_add_f32 v[36:37], v[34:35], v[36:37] neg_lo:[0,1] neg_hi:[0,1]
	v_pk_fma_f32 v[34:35], v[40:41], s[28:29], v[32:33] op_sel:[0,0,1] op_sel_hi:[1,0,0]
	v_pk_fma_f32 v[32:33], v[40:41], s[28:29], v[32:33] op_sel:[0,0,1] op_sel_hi:[1,0,0] neg_lo:[0,0,1] neg_hi:[0,0,1]
	v_pk_add_f32 v[62:63], v[8:9], v[22:23]
	s_mov_b32 s18, 0x3df6dbef
	v_pk_mul_f32 v[48:49], v[64:65], s[6:7] op_sel_hi:[1,0]
	s_mov_b32 s24, 0xbeb58ec6
	s_mov_b32 s34, 0x3f7e222b
	v_mov_b32_e32 v128, v34
	v_mov_b32_e32 v129, v33
	;; [unrolled: 1-line block ×3, first 2 shown]
	v_pk_mul_f32 v[34:35], v[42:43], s[20:21] op_sel_hi:[1,0]
	v_pk_fma_f32 v[58:59], v[62:63], s[18:19], v[48:49] op_sel:[0,0,1] op_sel_hi:[1,0,0]
	v_pk_fma_f32 v[116:117], v[62:63], s[18:19], v[48:49] op_sel:[0,0,1] op_sel_hi:[1,0,0] neg_lo:[0,0,1] neg_hi:[0,0,1]
	v_pk_mul_f32 v[48:49], v[74:75], s[6:7] op_sel_hi:[1,0]
	v_pk_fma_f32 v[44:45], v[40:41], s[24:25], v[34:35] op_sel:[0,0,1] op_sel_hi:[1,0,0]
	v_pk_fma_f32 v[34:35], v[40:41], s[24:25], v[34:35] op_sel:[0,0,1] op_sel_hi:[1,0,0] neg_lo:[0,0,1] neg_hi:[0,0,1]
	v_pk_mul_f32 v[52:53], v[38:39], s[34:35] op_sel_hi:[1,0]
	s_mov_b32 s7, s18
	s_mov_b32 s40, 0xbeedf032
	v_pk_add_f32 v[118:119], v[2:3], v[68:69] neg_lo:[0,1] neg_hi:[0,1]
	v_pk_fma_f32 v[50:51], v[72:73], s[18:19], v[48:49] op_sel:[0,0,1] op_sel_hi:[1,0,0] neg_lo:[0,0,1] neg_hi:[0,0,1]
	v_pk_fma_f32 v[48:49], v[72:73], s[18:19], v[48:49] op_sel:[0,0,1] op_sel_hi:[1,0,0]
	v_mov_b32_e32 v132, v44
	v_mov_b32_e32 v133, v35
	;; [unrolled: 1-line block ×3, first 2 shown]
	v_pk_fma_f32 v[44:45], v[26:27], s[18:19], v[52:53] op_sel:[0,0,1] op_sel_hi:[1,0,0] neg_lo:[0,0,1] neg_hi:[0,0,1]
	v_pk_fma_f32 v[52:53], v[26:27], s[18:19], v[52:53] op_sel:[0,0,1] op_sel_hi:[1,0,0]
	v_mov_b32_e32 v134, v43
	v_mov_b32_e32 v137, v42
	v_pk_mul_f32 v[138:139], v[76:77], s[18:19] op_sel_hi:[1,0]
	s_mov_b32 s19, s6
	v_pk_mul_f32 v[42:43], v[42:43], s[6:7] op_sel_hi:[1,0]
	v_mov_b32_e32 v140, v46
	v_mov_b32_e32 v141, v113
	;; [unrolled: 1-line block ×3, first 2 shown]
	s_mov_b32 s36, 0x3f62ad3f
	v_pk_add_f32 v[120:121], v[68:69], v[2:3]
	v_pk_mul_f32 v[46:47], v[118:119], s[40:41] op_sel:[1,0] op_sel_hi:[0,0]
	s_mov_b32 s38, 0x3eedf032
	v_mov_b32_e32 v135, v41
	v_mov_b32_e32 v136, v40
	v_pk_fma_f32 v[54:55], v[40:41], s[18:19], v[42:43] op_sel:[0,0,1] op_sel_hi:[1,0,0]
	v_pk_fma_f32 v[40:41], v[40:41], s[18:19], v[42:43] op_sel:[0,0,1] op_sel_hi:[1,0,0] neg_lo:[0,0,1] neg_hi:[0,0,1]
	v_pk_fma_f32 v[70:71], v[120:121], s[36:37], v[46:47] op_sel_hi:[1,0,1]
	v_pk_fma_f32 v[122:123], v[120:121], s[36:37], v[46:47] op_sel_hi:[1,0,1] neg_lo:[0,0,1] neg_hi:[0,0,1]
	v_pk_mul_f32 v[46:47], v[74:75], s[38:39] op_sel_hi:[1,0]
	v_pk_mul_f32 v[124:125], v[38:39], s[38:39] op_sel_hi:[1,0]
	;; [unrolled: 1-line block ×3, first 2 shown]
	v_mov_b32_e32 v42, v54
	v_mov_b32_e32 v43, v41
	;; [unrolled: 1-line block ×3, first 2 shown]
	v_pk_fma_f32 v[142:143], v[72:73], s[36:37], v[46:47] op_sel:[0,0,1] op_sel_hi:[1,0,0] neg_lo:[0,0,1] neg_hi:[0,0,1]
	v_pk_fma_f32 v[46:47], v[72:73], s[36:37], v[46:47] op_sel:[0,0,1] op_sel_hi:[1,0,0]
	v_pk_fma_f32 v[54:55], v[26:27], s[36:37], v[124:125] op_sel:[0,0,1] op_sel_hi:[1,0,0] neg_lo:[0,0,1] neg_hi:[0,0,1]
	v_pk_fma_f32 v[124:125], v[26:27], s[36:37], v[124:125] op_sel:[0,0,1] op_sel_hi:[1,0,0]
	;; [unrolled: 2-line block ×3, first 2 shown]
	s_mov_b32 s37, s40
	s_mov_b32 s41, s36
	v_pk_mul_f32 v[136:137], v[136:137], s[36:37]
	v_pk_add_f32 v[132:133], v[132:133], v[24:25]
	v_pk_fma_f32 v[146:147], v[134:135], s[40:41], v[136:137] neg_lo:[1,0,0] neg_hi:[1,0,0]
	v_pk_fma_f32 v[148:149], v[134:135], s[40:41], v[136:137]
	v_pk_fma_f32 v[134:135], v[134:135], s[40:41], v[136:137] neg_lo:[0,0,1] neg_hi:[0,0,1]
	v_mov_b32_e32 v147, v149
	v_mov_b32_e32 v149, v135
	;; [unrolled: 1-line block ×5, first 2 shown]
	v_pk_add_f32 v[114:115], v[146:147], v[24:25]
	v_pk_add_f32 v[136:137], v[140:141], v[24:25]
	;; [unrolled: 1-line block ×12, first 2 shown]
	v_pk_add_f32 v[28:29], v[28:29], v[30:31] neg_lo:[0,1] neg_hi:[0,1]
	v_pk_mul_f32 v[30:31], v[38:39], s[26:27] op_sel_hi:[1,0]
	s_mov_b32 s42, 0x3f6f5d39
	v_pk_fma_f32 v[40:41], v[26:27], s[30:31], v[30:31] op_sel:[0,0,1] op_sel_hi:[1,0,0]
	v_pk_fma_f32 v[30:31], v[26:27], s[30:31], v[30:31] op_sel:[0,0,1] op_sel_hi:[1,0,0] neg_lo:[0,0,1] neg_hi:[0,0,1]
	s_mov_b32 s40, 0x3f29c268
	v_mov_b32_e32 v127, v31
	v_mov_b32_e32 v31, v41
	v_pk_add_f32 v[30:31], v[30:31], v[32:33]
	v_pk_mul_f32 v[32:33], v[36:37], s[42:43] op_sel_hi:[1,0]
	v_mov_b32_e32 v161, v143
	v_pk_fma_f32 v[150:151], v[66:67], s[24:25], v[32:33] op_sel:[0,0,1] op_sel_hi:[1,0,0]
	v_pk_fma_f32 v[32:33], v[66:67], s[24:25], v[32:33] op_sel:[0,0,1] op_sel_hi:[1,0,0] neg_lo:[0,0,1] neg_hi:[0,0,1]
	v_mov_b32_e32 v143, v47
	v_mov_b32_e32 v41, v33
	;; [unrolled: 1-line block ×3, first 2 shown]
	v_pk_add_f32 v[30:31], v[32:33], v[30:31]
	v_pk_mul_f32 v[32:33], v[38:39], s[20:21] op_sel_hi:[1,0]
	v_pk_add_f32 v[30:31], v[142:143], v[30:31]
	v_pk_fma_f32 v[152:153], v[26:27], s[24:25], v[32:33] op_sel:[0,0,1] op_sel_hi:[1,0,0]
	v_pk_fma_f32 v[32:33], v[26:27], s[24:25], v[32:33] op_sel:[0,0,1] op_sel_hi:[1,0,0] neg_lo:[0,0,1] neg_hi:[0,0,1]
	v_mov_b32_e32 v154, v152
	v_mov_b32_e32 v155, v33
	;; [unrolled: 1-line block ×3, first 2 shown]
	v_pk_add_f32 v[32:33], v[32:33], v[34:35]
	v_pk_mul_f32 v[34:35], v[36:37], s[26:27] op_sel_hi:[1,0]
	v_mov_b32_e32 v160, v46
	v_pk_fma_f32 v[156:157], v[66:67], s[30:31], v[34:35] op_sel:[0,0,1] op_sel_hi:[1,0,0]
	v_pk_fma_f32 v[34:35], v[66:67], s[30:31], v[34:35] op_sel:[0,0,1] op_sel_hi:[1,0,0] neg_lo:[0,0,1] neg_hi:[0,0,1]
	v_mov_b32_e32 v152, v156
	v_mov_b32_e32 v153, v35
	;; [unrolled: 1-line block ×3, first 2 shown]
	v_pk_add_f32 v[32:33], v[34:35], v[32:33]
	v_pk_mul_f32 v[34:35], v[74:75], s[40:41] op_sel_hi:[1,0]
	v_mov_b32_e32 v126, v40
	v_pk_fma_f32 v[158:159], v[72:73], s[28:29], v[34:35] op_sel:[0,0,1] op_sel_hi:[1,0,0]
	v_pk_fma_f32 v[34:35], v[72:73], s[28:29], v[34:35] op_sel:[0,0,1] op_sel_hi:[1,0,0] neg_lo:[0,0,1] neg_hi:[0,0,1]
	v_mov_b32_e32 v156, v158
	v_mov_b32_e32 v157, v35
	;; [unrolled: 1-line block ×3, first 2 shown]
	v_pk_add_f32 v[32:33], v[34:35], v[32:33]
	v_pk_fma_f32 v[34:35], v[78:79], s[34:35], v[138:139] op_sel:[1,0,0] op_sel_hi:[0,0,1] neg_lo:[1,0,0] neg_hi:[1,0,0]
	v_pk_fma_f32 v[138:139], v[78:79], s[34:35], v[138:139] op_sel:[1,0,0] op_sel_hi:[0,0,1]
	v_mov_b32_e32 v47, v35
	v_mov_b32_e32 v35, v139
	v_pk_add_f32 v[32:33], v[34:35], v[32:33]
	v_pk_mul_f32 v[34:35], v[76:77], s[12:13] op_sel_hi:[1,0]
	v_mov_b32_e32 v46, v138
	v_pk_fma_f32 v[142:143], v[78:79], s[2:3], v[34:35] op_sel:[1,0,0] op_sel_hi:[0,0,1] neg_lo:[1,0,0] neg_hi:[1,0,0]
	v_pk_fma_f32 v[162:163], v[78:79], s[2:3], v[34:35] op_sel:[1,0,0] op_sel_hi:[0,0,1]
	v_mov_b32_e32 v139, v143
	v_mov_b32_e32 v143, v163
	v_pk_mul_f32 v[34:35], v[24:25], s[36:37] op_sel_hi:[1,0]
	v_pk_add_f32 v[30:31], v[142:143], v[30:31]
	v_pk_fma_f32 v[142:143], v[28:29], s[38:39], v[34:35] op_sel:[1,0,0] op_sel_hi:[0,0,1] neg_lo:[1,0,0] neg_hi:[1,0,0]
	v_pk_fma_f32 v[164:165], v[28:29], s[38:39], v[34:35] op_sel:[1,0,0] op_sel_hi:[0,0,1]
	v_mov_b32_e32 v151, v143
	v_mov_b32_e32 v143, v165
	v_pk_mul_f32 v[34:35], v[28:29], s[22:23] op_sel:[1,0] op_sel_hi:[0,0]
	v_pk_add_f32 v[32:33], v[142:143], v[32:33]
	v_pk_fma_f32 v[142:143], v[24:25], s[28:29], v[34:35] op_sel_hi:[1,0,1] neg_lo:[0,0,1] neg_hi:[0,0,1]
	v_pk_fma_f32 v[166:167], v[24:25], s[28:29], v[34:35] op_sel_hi:[1,0,1]
	v_mov_b32_e32 v34, v142
	v_mov_b32_e32 v35, v167
	v_pk_add_f32 v[34:35], v[34:35], v[30:31]
	v_pk_add_f32 v[30:31], v[154:155], v[136:137]
	v_mov_b32_e32 v40, v150
	v_pk_add_f32 v[30:31], v[152:153], v[30:31]
	v_pk_add_f32 v[42:43], v[126:127], v[42:43]
	;; [unrolled: 1-line block ×3, first 2 shown]
	v_mov_b32_e32 v150, v164
	v_pk_add_f32 v[30:31], v[46:47], v[30:31]
	v_pk_add_f32 v[40:41], v[40:41], v[42:43]
	;; [unrolled: 1-line block ×3, first 2 shown]
	v_pk_mul_f32 v[30:31], v[38:39], s[40:41] op_sel_hi:[1,0]
	v_mov_b32_e32 v138, v162
	v_pk_add_f32 v[40:41], v[160:161], v[40:41]
	v_pk_fma_f32 v[136:137], v[26:27], s[28:29], v[30:31] op_sel:[0,0,1] op_sel_hi:[1,0,0]
	v_pk_fma_f32 v[30:31], v[26:27], s[28:29], v[30:31] op_sel:[0,0,1] op_sel_hi:[1,0,0] neg_lo:[0,0,1] neg_hi:[0,0,1]
	v_pk_add_f32 v[40:41], v[138:139], v[40:41]
	v_mov_b32_e32 v139, v31
	v_mov_b32_e32 v31, v137
	;; [unrolled: 1-line block ×3, first 2 shown]
	v_pk_add_f32 v[30:31], v[30:31], v[128:129]
	v_mov_b32_e32 v143, v45
	v_mov_b32_e32 v45, v53
	;; [unrolled: 1-line block ×4, first 2 shown]
	v_pk_mul_f32 v[46:47], v[36:37], s[2:3] op_sel_hi:[1,0]
	s_mov_b32 s46, 0x3e750f2a
	v_pk_add_f32 v[44:45], v[44:45], v[140:141]
	v_pk_add_f32 v[30:31], v[144:145], v[30:31]
	v_pk_fma_f32 v[126:127], v[66:67], s[12:13], v[46:47] op_sel:[0,0,1] op_sel_hi:[1,0,0] neg_lo:[0,0,1] neg_hi:[0,0,1]
	v_pk_fma_f32 v[140:141], v[66:67], s[12:13], v[46:47] op_sel:[0,0,1] op_sel_hi:[1,0,0]
	v_mov_b32_e32 v145, v51
	v_mov_b32_e32 v51, v49
	v_pk_mul_f32 v[46:47], v[74:75], s[46:47] op_sel_hi:[1,0]
	v_mov_b32_e32 v131, v127
	v_mov_b32_e32 v127, v141
	v_pk_add_f32 v[30:31], v[50:51], v[30:31]
	v_pk_fma_f32 v[50:51], v[72:73], s[30:31], v[46:47] op_sel:[0,0,1] op_sel_hi:[1,0,0] neg_lo:[0,0,1] neg_hi:[0,0,1]
	v_pk_fma_f32 v[150:151], v[72:73], s[30:31], v[46:47] op_sel:[0,0,1] op_sel_hi:[1,0,0]
	v_pk_add_f32 v[44:45], v[126:127], v[44:45]
	v_mov_b32_e32 v46, v50
	v_mov_b32_e32 v47, v151
	v_pk_add_f32 v[44:45], v[46:47], v[44:45]
	v_pk_mul_f32 v[46:47], v[78:79], s[46:47] op_sel:[1,0] op_sel_hi:[0,0]
	v_pk_fma_f32 v[152:153], v[76:77], s[30:31], v[46:47] op_sel_hi:[1,0,1] neg_lo:[0,0,1] neg_hi:[0,0,1]
	v_pk_fma_f32 v[154:155], v[76:77], s[30:31], v[46:47] op_sel_hi:[1,0,1]
	v_mov_b32_e32 v46, v152
	v_mov_b32_e32 v47, v155
	v_pk_add_f32 v[46:47], v[46:47], v[30:31]
	v_pk_mul_f32 v[30:31], v[78:79], s[38:39] op_sel:[1,0] op_sel_hi:[0,0]
	v_pk_fma_f32 v[156:157], v[76:77], s[36:37], v[30:31] op_sel_hi:[1,0,1] neg_lo:[0,0,1] neg_hi:[0,0,1]
	v_pk_fma_f32 v[158:159], v[76:77], s[36:37], v[30:31] op_sel_hi:[1,0,1]
	v_mov_b32_e32 v30, v156
	v_mov_b32_e32 v31, v159
	v_pk_add_f32 v[128:129], v[20:21], v[10:11] neg_lo:[0,1] neg_hi:[0,1]
	v_pk_add_f32 v[160:161], v[30:31], v[44:45]
	v_pk_add_f32 v[126:127], v[10:11], v[20:21]
	v_pk_mul_f32 v[44:45], v[128:129], s[2:3] op_sel_hi:[1,0]
	s_mov_b32 s44, 0x3f52af12
	v_pk_fma_f32 v[30:31], v[126:127], s[12:13], v[44:45] op_sel:[0,0,1] op_sel_hi:[1,0,0]
	v_pk_fma_f32 v[172:173], v[126:127], s[12:13], v[44:45] op_sel:[0,0,1] op_sel_hi:[1,0,0] neg_lo:[0,0,1] neg_hi:[0,0,1]
	s_mov_b32 s13, s2
	v_pk_mul_f32 v[44:45], v[28:29], s[44:45] op_sel:[1,0] op_sel_hi:[0,0]
	v_pk_fma_f32 v[162:163], v[24:25], s[12:13], v[44:45] op_sel_hi:[1,0,1] neg_lo:[0,0,1] neg_hi:[0,0,1]
	v_pk_fma_f32 v[164:165], v[24:25], s[12:13], v[44:45] op_sel_hi:[1,0,1]
	v_mov_b32_e32 v142, v52
	v_mov_b32_e32 v138, v136
	;; [unrolled: 1-line block ×7, first 2 shown]
	v_pk_add_f32 v[48:49], v[138:139], v[132:133]
	v_pk_add_f32 v[132:133], v[142:143], v[146:147]
	;; [unrolled: 1-line block ×3, first 2 shown]
	v_pk_mul_f32 v[46:47], v[28:29], s[20:21] op_sel:[1,0] op_sel_hi:[0,0]
	v_pk_add_f32 v[48:49], v[52:53], v[48:49]
	v_pk_add_f32 v[52:53], v[130:131], v[132:133]
	v_mov_b32_e32 v151, v51
	v_pk_add_f32 v[40:41], v[166:167], v[40:41]
	v_pk_fma_f32 v[166:167], v[24:25], s[24:25], v[46:47] op_sel_hi:[1,0,1] neg_lo:[0,0,1] neg_hi:[0,0,1]
	v_pk_fma_f32 v[168:169], v[24:25], s[24:25], v[46:47] op_sel_hi:[1,0,1]
	v_pk_add_f32 v[48:49], v[144:145], v[48:49]
	v_pk_add_f32 v[50:51], v[150:151], v[52:53]
	v_mov_b32_e32 v155, v153
	v_mov_b32_e32 v159, v157
	;; [unrolled: 1-line block ×3, first 2 shown]
	v_pk_add_f32 v[48:49], v[154:155], v[48:49]
	v_pk_add_f32 v[52:53], v[158:159], v[50:51]
	v_mov_b32_e32 v165, v163
	v_mov_b32_e32 v169, v167
	v_pk_add_f32 v[50:51], v[164:165], v[48:49]
	v_pk_add_f32 v[48:49], v[168:169], v[52:53]
	v_mov_b32_e32 v52, v124
	v_mov_b32_e32 v53, v55
	;; [unrolled: 1-line block ×3, first 2 shown]
	v_pk_mul_f32 v[124:125], v[36:37], s[22:23] op_sel_hi:[1,0]
	v_pk_add_f32 v[52:53], v[52:53], v[134:135]
	v_pk_fma_f32 v[130:131], v[66:67], s[28:29], v[124:125] op_sel:[0,0,1] op_sel_hi:[1,0,0] neg_lo:[0,0,1] neg_hi:[0,0,1]
	v_pk_fma_f32 v[124:125], v[66:67], s[28:29], v[124:125] op_sel:[0,0,1] op_sel_hi:[1,0,0]
	v_pk_add_f32 v[54:55], v[54:55], v[148:149]
	v_mov_b32_e32 v133, v125
	v_mov_b32_e32 v125, v131
	v_pk_add_f32 v[52:53], v[124:125], v[52:53]
	v_pk_mul_f32 v[124:125], v[74:75], s[44:45] op_sel_hi:[1,0]
	v_mov_b32_e32 v132, v130
	v_pk_fma_f32 v[130:131], v[72:73], s[12:13], v[124:125] op_sel:[0,0,1] op_sel_hi:[1,0,0] neg_lo:[0,0,1] neg_hi:[0,0,1]
	v_pk_fma_f32 v[124:125], v[72:73], s[12:13], v[124:125] op_sel:[0,0,1] op_sel_hi:[1,0,0]
	v_pk_add_f32 v[54:55], v[132:133], v[54:55]
	v_mov_b32_e32 v133, v125
	v_mov_b32_e32 v125, v131
	v_pk_add_f32 v[2:3], v[0:1], v[2:3]
	v_pk_add_f32 v[52:53], v[124:125], v[52:53]
	v_pk_mul_f32 v[124:125], v[78:79], s[20:21] op_sel:[1,0] op_sel_hi:[0,0]
	v_pk_add_f32 v[2:3], v[2:3], v[20:21]
	v_mov_b32_e32 v132, v130
	v_pk_fma_f32 v[130:131], v[76:77], s[24:25], v[124:125] op_sel_hi:[1,0,1] neg_lo:[0,0,1] neg_hi:[0,0,1]
	v_pk_fma_f32 v[124:125], v[76:77], s[24:25], v[124:125] op_sel_hi:[1,0,1]
	v_pk_add_f32 v[2:3], v[2:3], v[22:23]
	v_pk_add_f32 v[54:55], v[132:133], v[54:55]
	v_mov_b32_e32 v133, v125
	v_mov_b32_e32 v125, v131
	v_pk_add_f32 v[2:3], v[2:3], v[16:17]
	v_mov_b32_e32 v132, v130
	v_pk_add_f32 v[124:125], v[124:125], v[52:53]
	v_pk_mul_f32 v[52:53], v[28:29], s[34:35] op_sel:[1,0] op_sel_hi:[0,0]
	v_pk_add_f32 v[2:3], v[2:3], v[18:19]
	v_pk_add_f32 v[54:55], v[132:133], v[54:55]
	v_pk_fma_f32 v[130:131], v[24:25], s[18:19], v[52:53] op_sel_hi:[1,0,1] neg_lo:[0,0,1] neg_hi:[0,0,1]
	v_pk_fma_f32 v[132:133], v[24:25], s[18:19], v[52:53] op_sel_hi:[1,0,1]
	v_pk_add_f32 v[2:3], v[2:3], v[4:5]
	v_mov_b32_e32 v52, v130
	v_mov_b32_e32 v53, v133
	;; [unrolled: 1-line block ×3, first 2 shown]
	v_pk_add_f32 v[2:3], v[2:3], v[6:7]
	v_pk_add_f32 v[52:53], v[52:53], v[54:55]
	;; [unrolled: 1-line block ×4, first 2 shown]
	v_mov_b32_e32 v125, v123
	v_mov_b32_e32 v123, v71
	v_pk_add_f32 v[170:171], v[16:17], v[14:15] neg_lo:[0,1] neg_hi:[0,1]
	v_pk_add_f32 v[2:3], v[2:3], v[14:15]
	v_pk_add_f32 v[162:163], v[6:7], v[4:5]
	v_pk_add_f32 v[168:169], v[4:5], v[6:7] neg_lo:[0,1] neg_hi:[0,1]
	v_pk_add_f32 v[4:5], v[0:1], v[122:123]
	v_mov_b32_e32 v71, v173
	v_mov_b32_e32 v173, v31
	;; [unrolled: 1-line block ×3, first 2 shown]
	v_pk_add_f32 v[166:167], v[14:15], v[16:17]
	v_pk_add_f32 v[2:3], v[2:3], v[8:9]
	;; [unrolled: 1-line block ×3, first 2 shown]
	v_mov_b32_e32 v31, v117
	v_mov_b32_e32 v117, v59
	v_pk_mul_f32 v[8:9], v[170:171], s[20:21] op_sel_hi:[1,0]
	v_pk_add_f32 v[6:7], v[116:117], v[4:5]
	v_pk_fma_f32 v[4:5], v[166:167], s[24:25], v[8:9] op_sel:[0,0,1] op_sel_hi:[1,0,0]
	v_pk_fma_f32 v[8:9], v[166:167], s[24:25], v[8:9] op_sel:[0,0,1] op_sel_hi:[1,0,0] neg_lo:[0,0,1] neg_hi:[0,0,1]
	v_pk_add_f32 v[164:165], v[18:19], v[12:13] neg_lo:[0,1] neg_hi:[0,1]
	v_mov_b32_e32 v59, v9
	v_mov_b32_e32 v9, v5
	v_pk_add_f32 v[46:47], v[46:47], v[160:161]
	v_pk_add_f32 v[160:161], v[12:13], v[18:19]
	;; [unrolled: 1-line block ×3, first 2 shown]
	v_pk_mul_f32 v[8:9], v[164:165], s[22:23] op_sel_hi:[1,0]
	v_pk_add_f32 v[2:3], v[2:3], v[10:11]
	v_pk_fma_f32 v[130:131], v[160:161], s[28:29], v[8:9] op_sel:[0,0,1] op_sel_hi:[1,0,0]
	v_pk_fma_f32 v[8:9], v[160:161], s[28:29], v[8:9] op_sel:[0,0,1] op_sel_hi:[1,0,0] neg_lo:[0,0,1] neg_hi:[0,0,1]
	v_pk_add_f32 v[2:3], v[2:3], v[68:69]
	v_mov_b32_e32 v133, v9
	v_mov_b32_e32 v9, v131
	v_pk_add_f32 v[6:7], v[8:9], v[6:7]
	v_pk_mul_f32 v[8:9], v[168:169], s[26:27] op_sel_hi:[1,0]
	s_nop 0
	v_pk_fma_f32 v[134:135], v[162:163], s[30:31], v[8:9] op_sel:[0,0,1] op_sel_hi:[1,0,0]
	v_pk_fma_f32 v[8:9], v[162:163], s[30:31], v[8:9] op_sel:[0,0,1] op_sel_hi:[1,0,0] neg_lo:[0,0,1] neg_hi:[0,0,1]
	s_barrier
	v_mov_b32_e32 v5, v9
	v_mov_b32_e32 v9, v135
	v_pk_add_f32 v[6:7], v[8:9], v[6:7]
	v_mul_lo_u16_e32 v8, 13, v92
	v_lshl_add_u32 v190, v8, 3, v191
	ds_write2_b64 v190, v[2:3], v[6:7] offset1:1
	v_mov_b32_e32 v3, v121
	v_mov_b32_e32 v121, v118
	s_mov_b32 s3, s12
	v_mov_b32_e32 v2, v119
	v_pk_mul_f32 v[8:9], v[120:121], s[12:13]
	v_pk_mul_f32 v[12:13], v[128:129], s[20:21] op_sel_hi:[1,0]
	v_pk_fma_f32 v[10:11], v[118:119], s[2:3], v[8:9] op_sel:[1,0,0] op_sel_hi:[0,1,1] neg_lo:[1,0,0] neg_hi:[1,0,0]
	v_pk_fma_f32 v[6:7], v[2:3], s[2:3], v[8:9]
	v_pk_mul_f32 v[142:143], v[128:129], s[26:27] op_sel_hi:[1,0]
	v_mov_b32_e32 v11, v7
	v_pk_add_f32 v[14:15], v[0:1], v[10:11]
	v_pk_fma_f32 v[10:11], v[126:127], s[24:25], v[12:13] op_sel:[0,0,1] op_sel_hi:[1,0,0] neg_lo:[0,0,1] neg_hi:[0,0,1]
	v_pk_fma_f32 v[12:13], v[126:127], s[24:25], v[12:13] op_sel:[0,0,1] op_sel_hi:[1,0,0]
	v_mov_b32_e32 v16, v10
	v_mov_b32_e32 v17, v13
	v_pk_add_f32 v[18:19], v[16:17], v[14:15]
	v_pk_mul_f32 v[16:17], v[64:65], s[26:27] op_sel_hi:[1,0]
	v_pk_mul_f32 v[74:75], v[74:75], s[20:21] op_sel_hi:[1,0]
	v_pk_fma_f32 v[14:15], v[62:63], s[30:31], v[16:17] op_sel:[0,0,1] op_sel_hi:[1,0,0] neg_lo:[0,0,1] neg_hi:[0,0,1]
	v_pk_fma_f32 v[16:17], v[62:63], s[30:31], v[16:17] op_sel:[0,0,1] op_sel_hi:[1,0,0]
	v_mov_b32_e32 v20, v14
	v_mov_b32_e32 v21, v17
	v_pk_add_f32 v[22:23], v[20:21], v[18:19]
	v_pk_mul_f32 v[20:21], v[170:171], s[40:41] op_sel_hi:[1,0]
	v_pk_mul_f32 v[78:79], v[78:79], s[22:23] op_sel:[1,0] op_sel_hi:[0,0]
	v_pk_fma_f32 v[18:19], v[166:167], s[28:29], v[20:21] op_sel:[0,0,1] op_sel_hi:[1,0,0] neg_lo:[0,0,1] neg_hi:[0,0,1]
	v_pk_fma_f32 v[20:21], v[166:167], s[28:29], v[20:21] op_sel:[0,0,1] op_sel_hi:[1,0,0]
	v_mov_b32_e32 v68, v18
	v_mov_b32_e32 v69, v21
	v_pk_add_f32 v[116:117], v[68:69], v[22:23]
	v_pk_mul_f32 v[68:69], v[164:165], s[34:35] op_sel_hi:[1,0]
	s_mov_b32 s21, s24
	v_pk_fma_f32 v[22:23], v[160:161], s[18:19], v[68:69] op_sel:[0,0,1] op_sel_hi:[1,0,0] neg_lo:[0,0,1] neg_hi:[0,0,1]
	v_pk_fma_f32 v[68:69], v[160:161], s[18:19], v[68:69] op_sel:[0,0,1] op_sel_hi:[1,0,0]
	v_mov_b32_e32 v122, v22
	v_mov_b32_e32 v123, v69
	v_pk_add_f32 v[136:137], v[122:123], v[116:117]
	v_pk_mul_f32 v[122:123], v[168:169], s[38:39] op_sel_hi:[1,0]
	v_pk_mul_f32 v[178:179], v[128:129], s[40:41] op_sel_hi:[1,0]
	v_pk_fma_f32 v[116:117], v[162:163], s[36:37], v[122:123] op_sel:[0,0,1] op_sel_hi:[1,0,0] neg_lo:[0,0,1] neg_hi:[0,0,1]
	v_pk_fma_f32 v[122:123], v[162:163], s[36:37], v[122:123] op_sel:[0,0,1] op_sel_hi:[1,0,0]
	v_mov_b32_e32 v138, v116
	v_mov_b32_e32 v139, v123
	v_pk_add_f32 v[172:173], v[138:139], v[136:137]
	v_pk_mul_f32 v[138:139], v[120:121], s[18:19]
	v_pk_fma_f32 v[180:181], v[126:127], s[28:29], v[178:179] op_sel:[0,0,1] op_sel_hi:[1,0,0] neg_lo:[0,0,1] neg_hi:[0,0,1]
	v_pk_fma_f32 v[140:141], v[118:119], s[6:7], v[138:139] op_sel:[1,0,0] op_sel_hi:[0,1,1] neg_lo:[1,0,0] neg_hi:[1,0,0]
	v_pk_fma_f32 v[136:137], v[2:3], s[6:7], v[138:139]
	v_pk_fma_f32 v[178:179], v[126:127], s[28:29], v[178:179] op_sel:[0,0,1] op_sel_hi:[1,0,0]
	v_mov_b32_e32 v141, v137
	v_pk_add_f32 v[144:145], v[0:1], v[140:141]
	v_pk_fma_f32 v[140:141], v[126:127], s[30:31], v[142:143] op_sel:[0,0,1] op_sel_hi:[1,0,0] neg_lo:[0,0,1] neg_hi:[0,0,1]
	v_pk_fma_f32 v[142:143], v[126:127], s[30:31], v[142:143] op_sel:[0,0,1] op_sel_hi:[1,0,0]
	v_mov_b32_e32 v146, v140
	v_mov_b32_e32 v147, v143
	v_pk_add_f32 v[148:149], v[146:147], v[144:145]
	v_pk_mul_f32 v[146:147], v[64:65], s[42:43] op_sel_hi:[1,0]
	v_mov_b32_e32 v182, v180
	v_pk_fma_f32 v[144:145], v[62:63], s[24:25], v[146:147] op_sel:[0,0,1] op_sel_hi:[1,0,0] neg_lo:[0,0,1] neg_hi:[0,0,1]
	v_pk_fma_f32 v[146:147], v[62:63], s[24:25], v[146:147] op_sel:[0,0,1] op_sel_hi:[1,0,0]
	v_mov_b32_e32 v150, v144
	v_mov_b32_e32 v151, v147
	v_pk_add_f32 v[152:153], v[150:151], v[148:149]
	v_pk_mul_f32 v[150:151], v[170:171], s[38:39] op_sel_hi:[1,0]
	v_mov_b32_e32 v183, v179
	v_pk_fma_f32 v[148:149], v[166:167], s[36:37], v[150:151] op_sel:[0,0,1] op_sel_hi:[1,0,0] neg_lo:[0,0,1] neg_hi:[0,0,1]
	v_pk_fma_f32 v[150:151], v[166:167], s[36:37], v[150:151] op_sel:[0,0,1] op_sel_hi:[1,0,0]
	v_mov_b32_e32 v154, v148
	v_mov_b32_e32 v155, v151
	v_pk_add_f32 v[156:157], v[154:155], v[152:153]
	v_pk_mul_f32 v[154:155], v[164:165], s[2:3] op_sel_hi:[1,0]
	v_pk_mul_f32 v[208:209], v[128:129], s[34:35] op_sel_hi:[1,0]
	v_pk_fma_f32 v[152:153], v[160:161], s[12:13], v[154:155] op_sel:[0,0,1] op_sel_hi:[1,0,0] neg_lo:[0,0,1] neg_hi:[0,0,1]
	v_pk_fma_f32 v[154:155], v[160:161], s[12:13], v[154:155] op_sel:[0,0,1] op_sel_hi:[1,0,0]
	v_mov_b32_e32 v158, v152
	v_mov_b32_e32 v159, v155
	v_pk_add_f32 v[174:175], v[158:159], v[156:157]
	v_pk_mul_f32 v[158:159], v[168:169], s[22:23] op_sel_hi:[1,0]
	s_mov_b32 s23, s28
	v_pk_fma_f32 v[156:157], v[162:163], s[28:29], v[158:159] op_sel:[0,0,1] op_sel_hi:[1,0,0] neg_lo:[0,0,1] neg_hi:[0,0,1]
	v_pk_fma_f32 v[158:159], v[162:163], s[28:29], v[158:159] op_sel:[0,0,1] op_sel_hi:[1,0,0]
	v_mov_b32_e32 v176, v156
	v_mov_b32_e32 v177, v159
	v_pk_add_f32 v[174:175], v[176:177], v[174:175]
	ds_write2_b64 v190, v[172:173], v[174:175] offset0:2 offset1:3
	v_pk_fma_f32 v[172:173], v[72:73], s[24:25], v[74:75] op_sel:[0,0,1] op_sel_hi:[1,0,0] neg_lo:[0,0,1] neg_hi:[0,0,1]
	v_pk_fma_f32 v[72:73], v[72:73], s[24:25], v[74:75] op_sel:[0,0,1] op_sel_hi:[1,0,0]
	s_mov_b32 s25, s20
	v_pk_fma_f32 v[74:75], v[76:77], s[28:29], v[78:79] op_sel_hi:[1,0,1] neg_lo:[0,0,1] neg_hi:[0,0,1]
	v_pk_fma_f32 v[76:77], v[76:77], s[28:29], v[78:79] op_sel_hi:[1,0,1]
	v_pk_mul_f32 v[78:79], v[120:121], s[24:25]
	s_mov_b32 s29, s22
	v_pk_fma_f32 v[174:175], v[118:119], s[20:21], v[78:79] op_sel:[1,0,0] op_sel_hi:[0,1,1] neg_lo:[1,0,0] neg_hi:[1,0,0]
	v_pk_fma_f32 v[176:177], v[2:3], s[20:21], v[78:79]
	v_pk_fma_f32 v[210:211], v[126:127], s[18:19], v[208:209] op_sel:[0,0,1] op_sel_hi:[1,0,0] neg_lo:[0,0,1] neg_hi:[0,0,1]
	v_mov_b32_e32 v175, v177
	v_pk_add_f32 v[174:175], v[0:1], v[174:175]
	v_pk_fma_f32 v[208:209], v[126:127], s[18:19], v[208:209] op_sel:[0,0,1] op_sel_hi:[1,0,0]
	v_pk_add_f32 v[174:175], v[182:183], v[174:175]
	v_pk_mul_f32 v[182:183], v[64:65], s[38:39] op_sel_hi:[1,0]
	v_mov_b32_e32 v212, v210
	v_pk_fma_f32 v[184:185], v[62:63], s[36:37], v[182:183] op_sel:[0,0,1] op_sel_hi:[1,0,0] neg_lo:[0,0,1] neg_hi:[0,0,1]
	v_pk_fma_f32 v[182:183], v[62:63], s[36:37], v[182:183] op_sel:[0,0,1] op_sel_hi:[1,0,0]
	v_mov_b32_e32 v186, v184
	v_mov_b32_e32 v187, v183
	v_pk_add_f32 v[174:175], v[186:187], v[174:175]
	v_pk_mul_f32 v[186:187], v[170:171], s[6:7] op_sel_hi:[1,0]
	v_mov_b32_e32 v213, v209
	v_pk_fma_f32 v[192:193], v[166:167], s[18:19], v[186:187] op_sel:[0,0,1] op_sel_hi:[1,0,0] neg_lo:[0,0,1] neg_hi:[0,0,1]
	v_pk_fma_f32 v[186:187], v[166:167], s[18:19], v[186:187] op_sel:[0,0,1] op_sel_hi:[1,0,0]
	v_mov_b32_e32 v194, v192
	v_mov_b32_e32 v195, v187
	v_pk_add_f32 v[174:175], v[194:195], v[174:175]
	v_pk_mul_f32 v[194:195], v[164:165], s[46:47] op_sel_hi:[1,0]
	v_pk_mul_f32 v[28:29], v[28:29], s[26:27] op_sel:[1,0] op_sel_hi:[0,0]
	v_pk_fma_f32 v[196:197], v[160:161], s[30:31], v[194:195] op_sel:[0,0,1] op_sel_hi:[1,0,0] neg_lo:[0,0,1] neg_hi:[0,0,1]
	v_pk_fma_f32 v[194:195], v[160:161], s[30:31], v[194:195] op_sel:[0,0,1] op_sel_hi:[1,0,0]
	v_mov_b32_e32 v198, v196
	v_mov_b32_e32 v199, v195
	v_pk_add_f32 v[174:175], v[198:199], v[174:175]
	v_pk_mul_f32 v[198:199], v[168:169], s[44:45] op_sel_hi:[1,0]
	s_mov_b32 s27, s30
	v_pk_fma_f32 v[200:201], v[162:163], s[12:13], v[198:199] op_sel:[0,0,1] op_sel_hi:[1,0,0] neg_lo:[0,0,1] neg_hi:[0,0,1]
	v_pk_fma_f32 v[198:199], v[162:163], s[12:13], v[198:199] op_sel:[0,0,1] op_sel_hi:[1,0,0]
	v_mov_b32_e32 v202, v200
	v_mov_b32_e32 v203, v199
	v_pk_add_f32 v[174:175], v[202:203], v[174:175]
	v_pk_mul_f32 v[202:203], v[120:121], s[28:29]
	v_mov_b32_e32 v209, v211
	v_pk_fma_f32 v[204:205], v[118:119], s[22:23], v[202:203] op_sel:[1,0,0] op_sel_hi:[0,1,1] neg_lo:[1,0,0] neg_hi:[1,0,0]
	v_pk_fma_f32 v[206:207], v[2:3], s[22:23], v[202:203]
	v_mov_b32_e32 v179, v181
	v_mov_b32_e32 v205, v207
	v_pk_add_f32 v[204:205], v[0:1], v[204:205]
	v_mov_b32_e32 v183, v185
	v_pk_add_f32 v[204:205], v[212:213], v[204:205]
	v_pk_mul_f32 v[212:213], v[64:65], s[2:3] op_sel_hi:[1,0]
	v_pk_mul_f32 v[64:65], v[64:65], s[22:23] op_sel_hi:[1,0]
	v_pk_fma_f32 v[214:215], v[62:63], s[12:13], v[212:213] op_sel:[0,0,1] op_sel_hi:[1,0,0] neg_lo:[0,0,1] neg_hi:[0,0,1]
	v_pk_fma_f32 v[212:213], v[62:63], s[12:13], v[212:213] op_sel:[0,0,1] op_sel_hi:[1,0,0]
	v_mov_b32_e32 v216, v214
	v_mov_b32_e32 v217, v213
	v_pk_add_f32 v[204:205], v[216:217], v[204:205]
	v_pk_mul_f32 v[216:217], v[170:171], s[46:47] op_sel_hi:[1,0]
	v_mov_b32_e32 v213, v215
	v_pk_fma_f32 v[218:219], v[166:167], s[30:31], v[216:217] op_sel:[0,0,1] op_sel_hi:[1,0,0] neg_lo:[0,0,1] neg_hi:[0,0,1]
	v_pk_fma_f32 v[216:217], v[166:167], s[30:31], v[216:217] op_sel:[0,0,1] op_sel_hi:[1,0,0]
	v_mov_b32_e32 v220, v218
	v_mov_b32_e32 v221, v217
	v_pk_add_f32 v[204:205], v[220:221], v[204:205]
	v_pk_mul_f32 v[220:221], v[164:165], s[38:39] op_sel_hi:[1,0]
	v_pk_mul_f32 v[164:165], v[164:165], s[20:21] op_sel_hi:[1,0]
	v_pk_fma_f32 v[222:223], v[160:161], s[36:37], v[220:221] op_sel:[0,0,1] op_sel_hi:[1,0,0] neg_lo:[0,0,1] neg_hi:[0,0,1]
	v_pk_fma_f32 v[220:221], v[160:161], s[36:37], v[220:221] op_sel:[0,0,1] op_sel_hi:[1,0,0]
	v_mov_b32_e32 v224, v222
	v_mov_b32_e32 v225, v221
	v_pk_add_f32 v[204:205], v[224:225], v[204:205]
	v_pk_mul_f32 v[224:225], v[168:169], s[20:21] op_sel_hi:[1,0]
	v_mov_b32_e32 v217, v219
	v_pk_fma_f32 v[226:227], v[162:163], s[24:25], v[224:225] op_sel:[0,0,1] op_sel_hi:[1,0,0] neg_lo:[0,0,1] neg_hi:[0,0,1]
	v_pk_fma_f32 v[224:225], v[162:163], s[24:25], v[224:225] op_sel:[0,0,1] op_sel_hi:[1,0,0]
	v_mov_b32_e32 v228, v226
	v_mov_b32_e32 v229, v225
	v_pk_add_f32 v[204:205], v[228:229], v[204:205]
	ds_write2_b64 v190, v[174:175], v[204:205] offset0:4 offset1:5
	v_pk_fma_f32 v[174:175], v[24:25], s[30:31], v[28:29] op_sel_hi:[1,0,1] neg_lo:[0,0,1] neg_hi:[0,0,1]
	v_pk_fma_f32 v[28:29], v[24:25], s[30:31], v[28:29] op_sel_hi:[1,0,1]
	s_mov_b32 s31, s26
	v_pk_mul_f32 v[24:25], v[128:129], s[38:39] op_sel_hi:[1,0]
	v_pk_mul_f32 v[120:121], v[120:121], s[30:31]
	v_pk_fma_f32 v[128:129], v[126:127], s[36:37], v[24:25] op_sel:[0,0,1] op_sel_hi:[1,0,0] neg_lo:[0,0,1] neg_hi:[0,0,1]
	v_pk_fma_f32 v[24:25], v[126:127], s[36:37], v[24:25] op_sel:[0,0,1] op_sel_hi:[1,0,0]
	v_pk_fma_f32 v[118:119], v[118:119], s[26:27], v[120:121] op_sel:[1,0,0] op_sel_hi:[0,1,1] neg_lo:[1,0,0] neg_hi:[1,0,0]
	v_pk_fma_f32 v[126:127], v[2:3], s[26:27], v[120:121]
	v_mov_b32_e32 v204, v128
	v_mov_b32_e32 v119, v127
	v_pk_add_f32 v[118:119], v[0:1], v[118:119]
	v_mov_b32_e32 v205, v25
	v_pk_add_f32 v[118:119], v[204:205], v[118:119]
	v_pk_fma_f32 v[204:205], v[62:63], s[28:29], v[64:65] op_sel:[0,0,1] op_sel_hi:[1,0,0] neg_lo:[0,0,1] neg_hi:[0,0,1]
	v_pk_fma_f32 v[62:63], v[62:63], s[28:29], v[64:65] op_sel:[0,0,1] op_sel_hi:[1,0,0]
	v_mov_b32_e32 v64, v204
	v_mov_b32_e32 v65, v63
	v_pk_add_f32 v[64:65], v[64:65], v[118:119]
	v_pk_mul_f32 v[118:119], v[170:171], s[44:45] op_sel_hi:[1,0]
	v_pk_fma_f32 v[120:121], v[2:3], s[26:27], v[120:121] neg_lo:[0,0,1] neg_hi:[0,0,1]
	v_pk_fma_f32 v[170:171], v[166:167], s[12:13], v[118:119] op_sel:[0,0,1] op_sel_hi:[1,0,0] neg_lo:[0,0,1] neg_hi:[0,0,1]
	v_pk_fma_f32 v[118:119], v[166:167], s[12:13], v[118:119] op_sel:[0,0,1] op_sel_hi:[1,0,0]
	v_mov_b32_e32 v166, v170
	v_mov_b32_e32 v167, v119
	;; [unrolled: 1-line block ×3, first 2 shown]
	v_pk_add_f32 v[64:65], v[166:167], v[64:65]
	v_pk_fma_f32 v[166:167], v[160:161], s[24:25], v[164:165] op_sel:[0,0,1] op_sel_hi:[1,0,0] neg_lo:[0,0,1] neg_hi:[0,0,1]
	v_pk_fma_f32 v[160:161], v[160:161], s[24:25], v[164:165] op_sel:[0,0,1] op_sel_hi:[1,0,0]
	v_mov_b32_e32 v25, v129
	v_pk_add_f32 v[120:121], v[0:1], v[126:127]
	v_mov_b32_e32 v164, v166
	v_mov_b32_e32 v165, v161
	v_pk_add_f32 v[24:25], v[24:25], v[120:121]
	v_mov_b32_e32 v63, v205
	v_pk_add_f32 v[64:65], v[164:165], v[64:65]
	v_pk_mul_f32 v[164:165], v[168:169], s[34:35] op_sel_hi:[1,0]
	v_pk_add_f32 v[24:25], v[62:63], v[24:25]
	v_mov_b32_e32 v119, v171
	v_pk_fma_f32 v[168:169], v[162:163], s[18:19], v[164:165] op_sel:[0,0,1] op_sel_hi:[1,0,0] neg_lo:[0,0,1] neg_hi:[0,0,1]
	v_pk_fma_f32 v[162:163], v[162:163], s[18:19], v[164:165] op_sel:[0,0,1] op_sel_hi:[1,0,0]
	v_pk_add_f32 v[24:25], v[118:119], v[24:25]
	v_mov_b32_e32 v161, v167
	v_mov_b32_e32 v164, v168
	;; [unrolled: 1-line block ×3, first 2 shown]
	v_pk_add_f32 v[24:25], v[160:161], v[24:25]
	v_mov_b32_e32 v163, v169
	v_pk_add_f32 v[64:65], v[164:165], v[64:65]
	v_pk_add_f32 v[24:25], v[162:163], v[24:25]
	ds_write2_b64 v190, v[64:65], v[24:25] offset0:6 offset1:7
	v_pk_fma_f32 v[24:25], v[2:3], s[22:23], v[202:203] neg_lo:[0,0,1] neg_hi:[0,0,1]
	v_pk_fma_f32 v[62:63], v[2:3], s[20:21], v[78:79] neg_lo:[0,0,1] neg_hi:[0,0,1]
	v_mov_b32_e32 v207, v25
	v_mov_b32_e32 v177, v63
	v_pk_add_f32 v[24:25], v[0:1], v[206:207]
	v_pk_add_f32 v[62:63], v[0:1], v[176:177]
	;; [unrolled: 1-line block ×6, first 2 shown]
	v_mov_b32_e32 v187, v193
	v_pk_add_f32 v[24:25], v[216:217], v[24:25]
	v_mov_b32_e32 v221, v223
	v_pk_add_f32 v[62:63], v[186:187], v[62:63]
	;; [unrolled: 2-line block ×5, first 2 shown]
	v_pk_add_f32 v[62:63], v[198:199], v[62:63]
	v_mov_b32_e32 v124, v70
	ds_write2_b64 v190, v[24:25], v[62:63] offset0:8 offset1:9
	v_mov_b32_e32 v70, v30
	v_pk_add_f32 v[24:25], v[0:1], v[124:125]
	v_mov_b32_e32 v30, v58
	v_pk_add_f32 v[24:25], v[70:71], v[24:25]
	;; [unrolled: 2-line block ×5, first 2 shown]
	v_mov_b32_e32 v25, v27
	v_mov_b32_e32 v27, v38
	;; [unrolled: 1-line block ×3, first 2 shown]
	v_pk_mul_f32 v[26:27], v[26:27], s[12:13]
	v_mov_b32_e32 v67, v36
	v_pk_add_f32 v[70:71], v[56:57], v[60:61]
	v_pk_fma_f32 v[38:39], v[24:25], s[2:3], v[26:27] neg_lo:[1,0,0] neg_hi:[1,0,0]
	v_pk_fma_f32 v[56:57], v[24:25], s[2:3], v[26:27]
	v_mov_b32_e32 v58, v37
	v_pk_mul_f32 v[36:37], v[66:67], s[18:19]
	v_pk_fma_f32 v[24:25], v[24:25], s[2:3], v[26:27] neg_lo:[0,0,1] neg_hi:[0,0,1]
	v_mov_b32_e32 v39, v57
	v_pk_fma_f32 v[60:61], v[58:59], s[6:7], v[36:37] neg_lo:[1,0,0] neg_hi:[1,0,0]
	v_pk_fma_f32 v[62:63], v[58:59], s[6:7], v[36:37]
	v_mov_b32_e32 v57, v25
	v_pk_fma_f32 v[26:27], v[58:59], s[6:7], v[36:37] neg_lo:[0,0,1] neg_hi:[0,0,1]
	v_pk_add_f32 v[38:39], v[38:39], v[114:115]
	v_mov_b32_e32 v61, v63
	v_pk_add_f32 v[24:25], v[56:57], v[112:113]
	v_mov_b32_e32 v63, v27
	;; [unrolled: 2-line block ×3, first 2 shown]
	v_mov_b32_e32 v61, v73
	v_mov_b32_e32 v73, v173
	v_pk_add_f32 v[24:25], v[62:63], v[24:25]
	v_pk_add_f32 v[38:39], v[60:61], v[38:39]
	v_mov_b32_e32 v61, v77
	v_pk_add_f32 v[24:25], v[72:73], v[24:25]
	v_mov_b32_e32 v77, v75
	;; [unrolled: 2-line block ×3, first 2 shown]
	v_mov_b32_e32 v29, v175
	v_pk_add_f32 v[130:131], v[28:29], v[26:27]
	v_pk_fma_f32 v[26:27], v[2:3], s[6:7], v[138:139] neg_lo:[0,0,1] neg_hi:[0,0,1]
	v_pk_fma_f32 v[2:3], v[2:3], s[2:3], v[8:9] neg_lo:[0,0,1] neg_hi:[0,0,1]
	v_mov_b32_e32 v137, v27
	v_mov_b32_e32 v7, v3
	v_pk_add_f32 v[26:27], v[0:1], v[136:137]
	v_mov_b32_e32 v143, v141
	v_pk_add_f32 v[0:1], v[0:1], v[6:7]
	;; [unrolled: 2-line block ×6, first 2 shown]
	v_mov_b32_e32 v21, v19
	v_mov_b32_e32 v60, v74
	s_load_dwordx2 s[0:1], s[0:1], 0x8
	v_pk_add_f32 v[26:27], v[150:151], v[26:27]
	v_mov_b32_e32 v155, v153
	v_pk_add_f32 v[0:1], v[20:21], v[0:1]
	v_mov_b32_e32 v69, v23
	;; [unrolled: 2-line block ×5, first 2 shown]
	v_mov_b32_e32 v4, v134
	v_pk_add_f32 v[72:73], v[24:25], v[38:39]
	v_lshl_add_u64 v[24:25], v[92:93], 0, 39
	v_pk_add_f32 v[26:27], v[158:159], v[26:27]
	v_pk_add_f32 v[0:1], v[122:123], v[0:1]
	;; [unrolled: 1-line block ×3, first 2 shown]
	ds_write2_b64 v190, v[26:27], v[0:1] offset0:10 offset1:11
	ds_write_b64 v190, v[4:5] offset:96
	v_mul_u32_u24_e32 v0, 13, v24
	v_accvgpr_write_b32 a6, v0
	s_and_saveexec_b64 s[2:3], s[4:5]
	s_cbranch_execz .LBB0_7
; %bb.6:
	v_accvgpr_read_b32 v0, a6
	v_lshl_add_u32 v0, v0, 3, v191
	ds_write2_b64 v0, v[70:71], v[72:73] offset1:1
	ds_write2_b64 v0, v[32:33], v[34:35] offset0:2 offset1:3
	ds_write2_b64 v0, v[44:45], v[46:47] offset0:4 offset1:5
	;; [unrolled: 1-line block ×5, first 2 shown]
	ds_write_b64 v0, v[130:131] offset:96
.LBB0_7:
	s_or_b64 exec, exec, s[2:3]
	v_add_u32_e32 v0, 0x800, v101
	s_waitcnt lgkmcnt(0)
	s_barrier
	ds_read2_b64 v[60:63], v101 offset1:39
	ds_read2_b64 v[64:67], v101 offset0:182 offset1:221
	ds_read2_b64 v[36:39], v0 offset0:108 offset1:147
	;; [unrolled: 1-line block ×5, first 2 shown]
	v_cmp_gt_u16_e64 s[2:3], 26, v92
	s_and_saveexec_b64 s[6:7], s[2:3]
	s_cbranch_execz .LBB0_9
; %bb.8:
	v_add_u32_e32 v0, 0x400, v101
	ds_read2_b64 v[4:7], v0 offset0:28 offset1:210
	ds_read_b64 v[72:73], v101 offset:4160
	s_waitcnt lgkmcnt(1)
	v_mov_b32_e32 v70, v6
	v_mov_b32_e32 v71, v7
.LBB0_9:
	s_or_b64 exec, exec, s[6:7]
	s_movk_i32 s7, 0x4f
	v_mul_lo_u16_sdwa v0, v92, s7 dst_sel:DWORD dst_unused:UNUSED_PAD src0_sel:BYTE_0 src1_sel:DWORD
	v_lshrrev_b16_e32 v7, 10, v0
	v_mul_lo_u16_e32 v0, 13, v7
	v_sub_u16_e32 v28, v92, v0
	v_mul_lo_u16_sdwa v0, v24, s7 dst_sel:DWORD dst_unused:UNUSED_PAD src0_sel:BYTE_0 src1_sel:DWORD
	v_lshrrev_b16_e32 v30, 10, v0
	v_add_u16_e32 v0, 0x9c, v92
	v_mul_lo_u16_sdwa v1, v0, s7 dst_sel:DWORD dst_unused:UNUSED_PAD src0_sel:BYTE_0 src1_sel:DWORD
	v_lshrrev_b16_e32 v93, 10, v1
	v_mul_lo_u16_e32 v1, 13, v93
	v_mov_b32_e32 v29, 4
	v_mul_lo_u16_e32 v16, 13, v30
	v_sub_u16_e32 v0, v0, v1
	v_lshlrev_b32_sdwa v6, v29, v28 dst_sel:DWORD dst_unused:UNUSED_PAD src0_sel:DWORD src1_sel:BYTE_0
	v_accvgpr_write_b32 a0, v0
	v_lshlrev_b32_sdwa v0, v29, v0 dst_sel:DWORD dst_unused:UNUSED_PAD src0_sel:DWORD src1_sel:BYTE_0
	v_sub_u16_e32 v31, v24, v16
	global_load_dwordx4 v[0:3], v0, s[0:1]
	v_add_u16_e32 v24, 0x4e, v92
	global_load_dwordx4 v[16:19], v6, s[0:1]
	v_lshlrev_b32_sdwa v6, v29, v31 dst_sel:DWORD dst_unused:UNUSED_PAD src0_sel:DWORD src1_sel:BYTE_0
	global_load_dwordx4 v[20:23], v6, s[0:1]
	v_mul_lo_u16_sdwa v25, v24, s7 dst_sel:DWORD dst_unused:UNUSED_PAD src0_sel:BYTE_0 src1_sel:DWORD
	v_lshrrev_b16_e32 v115, 10, v25
	v_mul_lo_u16_e32 v25, 13, v115
	v_sub_u16_e32 v118, v24, v25
	v_lshlrev_b32_sdwa v24, v29, v118 dst_sel:DWORD dst_unused:UNUSED_PAD src0_sel:DWORD src1_sel:BYTE_0
	global_load_dwordx4 v[24:27], v24, s[0:1]
	v_add_u16_e32 v74, 0x75, v92
	v_mov_b32_e32 v6, v71
	v_mul_lo_u16_sdwa v71, v74, s7 dst_sel:DWORD dst_unused:UNUSED_PAD src0_sel:BYTE_0 src1_sel:DWORD
	v_lshrrev_b16_e32 v119, 10, v71
	v_mul_lo_u16_e32 v71, 13, v119
	v_sub_u16_e32 v120, v74, v71
	v_mul_u32_u24_e32 v7, 39, v7
	v_mul_u32_u24_e32 v30, 39, v30
	v_lshlrev_b32_sdwa v29, v29, v120 dst_sel:DWORD dst_unused:UNUSED_PAD src0_sel:DWORD src1_sel:BYTE_0
	v_add_u32_sdwa v7, v7, v28 dst_sel:DWORD dst_unused:UNUSED_PAD src0_sel:DWORD src1_sel:BYTE_0
	v_add_u32_sdwa v71, v30, v31 dst_sel:DWORD dst_unused:UNUSED_PAD src0_sel:DWORD src1_sel:BYTE_0
	global_load_dwordx4 v[28:31], v29, s[0:1]
	v_mov_b32_e32 v69, 0
	s_waitcnt lgkmcnt(0)
	v_mov_b32_e32 v68, v73
	v_lshl_add_u32 v122, v7, 3, v191
	v_lshl_add_u32 v121, v71, 3, v191
	s_mov_b32 s6, 0x3f5db3d7
	s_barrier
	v_accvgpr_write_b32 a2, v122
	v_accvgpr_write_b32 a1, v121
	s_waitcnt vmcnt(4)
	v_pk_mul_f32 v[74:75], v[6:7], v[0:1] op_sel_hi:[0,1]
	v_pk_mul_f32 v[76:77], v[68:69], v[2:3] op_sel_hi:[0,1]
	s_waitcnt vmcnt(3)
	v_pk_mul_f32 v[78:79], v[64:65], v[16:17] op_sel:[0,1]
	v_mov_b32_e32 v68, v19
	s_waitcnt vmcnt(2)
	v_pk_mul_f32 v[112:113], v[66:67], v[20:21] op_sel:[0,1]
	v_mov_b32_e32 v114, v23
	v_pk_fma_f32 v[6:7], v[70:71], v[0:1], v[74:75] op_sel:[0,0,1] op_sel_hi:[1,1,0] neg_lo:[0,0,1] neg_hi:[0,0,1]
	v_pk_fma_f32 v[74:75], v[70:71], v[0:1], v[74:75] op_sel:[0,0,1] op_sel_hi:[0,1,0]
	v_pk_fma_f32 v[70:71], v[72:73], v[2:3], v[76:77] op_sel:[0,0,1] op_sel_hi:[1,1,0] neg_lo:[0,0,1] neg_hi:[0,0,1]
	v_pk_fma_f32 v[72:73], v[72:73], v[2:3], v[76:77] op_sel:[0,0,1] op_sel_hi:[0,1,0]
	v_pk_fma_f32 v[76:77], v[64:65], v[16:17], v[78:79] op_sel:[0,0,1] op_sel_hi:[1,1,0] neg_lo:[0,0,1] neg_hi:[0,0,1]
	v_pk_fma_f32 v[64:65], v[64:65], v[16:17], v[78:79] op_sel:[0,0,1] op_sel_hi:[1,0,0]
	v_pk_mul_f32 v[78:79], v[36:37], v[68:69] op_sel_hi:[1,0]
	v_pk_fma_f32 v[116:117], v[66:67], v[20:21], v[112:113] op_sel:[0,0,1] op_sel_hi:[1,1,0] neg_lo:[0,0,1] neg_hi:[0,0,1]
	v_pk_fma_f32 v[66:67], v[66:67], v[20:21], v[112:113] op_sel:[0,0,1] op_sel_hi:[1,0,0]
	v_pk_mul_f32 v[112:113], v[38:39], v[114:115] op_sel_hi:[1,0]
	v_mov_b32_e32 v7, v75
	v_mov_b32_e32 v71, v73
	;; [unrolled: 1-line block ×3, first 2 shown]
	v_pk_fma_f32 v[64:65], v[36:37], v[18:19], v[78:79] op_sel:[0,0,1] op_sel_hi:[1,1,0] neg_lo:[0,0,1] neg_hi:[0,0,1]
	v_pk_fma_f32 v[36:37], v[36:37], v[18:19], v[78:79] op_sel:[0,0,1] op_sel_hi:[1,0,0]
	v_mov_b32_e32 v117, v67
	v_pk_fma_f32 v[66:67], v[38:39], v[22:23], v[112:113] op_sel:[0,0,1] op_sel_hi:[1,1,0] neg_lo:[0,0,1] neg_hi:[0,0,1]
	v_pk_fma_f32 v[38:39], v[38:39], v[22:23], v[112:113] op_sel:[0,0,1] op_sel_hi:[1,0,0]
	v_pk_add_f32 v[72:73], v[6:7], v[70:71]
	v_pk_add_f32 v[74:75], v[6:7], v[70:71] neg_lo:[0,1] neg_hi:[0,1]
	v_mov_b32_e32 v65, v37
	v_pk_add_f32 v[36:37], v[60:61], v[76:77]
	v_mov_b32_e32 v67, v39
	v_pk_fma_f32 v[38:39], v[72:73], 0.5, v[4:5] op_sel_hi:[1,0,1] neg_lo:[1,0,0] neg_hi:[1,0,0]
	v_pk_mul_f32 v[72:73], v[74:75], s[6:7] op_sel_hi:[1,0]
	v_pk_add_f32 v[78:79], v[76:77], v[64:65]
	v_pk_add_f32 v[76:77], v[76:77], v[64:65] neg_lo:[0,1] neg_hi:[0,1]
	v_pk_add_f32 v[74:75], v[36:37], v[64:65]
	v_pk_add_f32 v[36:37], v[38:39], v[72:73] op_sel:[0,1] op_sel_hi:[1,0] neg_lo:[0,1] neg_hi:[0,1]
	v_pk_add_f32 v[64:65], v[38:39], v[72:73] op_sel:[0,1] op_sel_hi:[1,0]
	v_pk_fma_f32 v[60:61], v[78:79], 0.5, v[60:61] op_sel_hi:[1,0,1] neg_lo:[1,0,0] neg_hi:[1,0,0]
	v_pk_mul_f32 v[72:73], v[76:77], s[6:7] op_sel_hi:[1,0]
	v_mov_b32_e32 v38, v36
	v_pk_add_f32 v[76:77], v[60:61], v[72:73] op_sel:[0,1] op_sel_hi:[1,0]
	v_pk_add_f32 v[60:61], v[60:61], v[72:73] op_sel:[0,1] op_sel_hi:[1,0] neg_lo:[0,1] neg_hi:[0,1]
	v_mov_b32_e32 v72, v76
	v_mov_b32_e32 v73, v61
	;; [unrolled: 1-line block ×3, first 2 shown]
	ds_write_b64 v122, v[60:61] offset:208
	v_pk_add_f32 v[60:61], v[62:63], v[116:117]
	ds_write2_b64 v122, v[74:75], v[72:73] offset1:13
	v_pk_add_f32 v[60:61], v[60:61], v[66:67]
	v_pk_add_f32 v[72:73], v[116:117], v[66:67]
	v_pk_add_f32 v[66:67], v[116:117], v[66:67] neg_lo:[0,1] neg_hi:[0,1]
	v_pk_fma_f32 v[62:63], v[72:73], 0.5, v[62:63] op_sel_hi:[1,0,1] neg_lo:[1,0,0] neg_hi:[1,0,0]
	v_pk_mul_f32 v[66:67], v[66:67], s[6:7] op_sel_hi:[1,0]
	v_mul_u32_u24_e32 v36, 39, v115
	v_pk_add_f32 v[72:73], v[62:63], v[66:67] op_sel:[0,1] op_sel_hi:[1,0]
	v_pk_add_f32 v[62:63], v[62:63], v[66:67] op_sel:[0,1] op_sel_hi:[1,0] neg_lo:[0,1] neg_hi:[0,1]
	v_mov_b32_e32 v66, v72
	v_mov_b32_e32 v67, v63
	ds_write2_b64 v121, v[60:61], v[66:67] offset1:13
	v_mov_b32_e32 v63, v73
	v_add_u32_sdwa v36, v36, v118 dst_sel:DWORD dst_unused:UNUSED_PAD src0_sel:DWORD src1_sel:BYTE_0
	s_waitcnt vmcnt(1)
	v_pk_mul_f32 v[60:61], v[56:57], v[24:25] op_sel:[0,1]
	v_mov_b32_e32 v39, v65
	ds_write_b64 v121, v[62:63] offset:208
	v_lshl_add_u32 v65, v36, 3, v191
	v_pk_fma_f32 v[62:63], v[56:57], v[24:25], v[60:61] op_sel:[0,0,1] op_sel_hi:[1,1,0] neg_lo:[0,0,1] neg_hi:[0,0,1]
	v_pk_fma_f32 v[56:57], v[56:57], v[24:25], v[60:61] op_sel:[0,0,1] op_sel_hi:[1,0,0]
	v_mov_b32_e32 v36, v27
	v_mov_b32_e32 v63, v57
	v_pk_mul_f32 v[56:57], v[12:13], v[36:37] op_sel_hi:[1,0]
	v_accvgpr_write_b32 a3, v65
	v_pk_fma_f32 v[60:61], v[12:13], v[26:27], v[56:57] op_sel:[0,0,1] op_sel_hi:[1,1,0] neg_lo:[0,0,1] neg_hi:[0,0,1]
	v_pk_fma_f32 v[12:13], v[12:13], v[26:27], v[56:57] op_sel:[0,0,1] op_sel_hi:[1,0,0]
	s_nop 0
	v_mov_b32_e32 v61, v13
	v_pk_add_f32 v[56:57], v[62:63], v[60:61]
	v_pk_add_f32 v[12:13], v[8:9], v[62:63]
	v_pk_fma_f32 v[8:9], v[56:57], 0.5, v[8:9] op_sel_hi:[1,0,1] neg_lo:[1,0,0] neg_hi:[1,0,0]
	v_pk_add_f32 v[56:57], v[62:63], v[60:61] neg_lo:[0,1] neg_hi:[0,1]
	v_pk_add_f32 v[12:13], v[12:13], v[60:61]
	v_pk_mul_f32 v[56:57], v[56:57], s[6:7] op_sel_hi:[1,0]
	s_nop 0
	v_pk_add_f32 v[60:61], v[8:9], v[56:57] op_sel:[0,1] op_sel_hi:[1,0]
	v_pk_add_f32 v[8:9], v[8:9], v[56:57] op_sel:[0,1] op_sel_hi:[1,0] neg_lo:[0,1] neg_hi:[0,1]
	v_mov_b32_e32 v56, v60
	v_mov_b32_e32 v57, v9
	;; [unrolled: 1-line block ×3, first 2 shown]
	ds_write_b64 v65, v[8:9] offset:208
	v_mul_u32_u24_e32 v8, 39, v119
	v_add_u32_sdwa v8, v8, v120 dst_sel:DWORD dst_unused:UNUSED_PAD src0_sel:DWORD src1_sel:BYTE_0
	v_lshl_add_u32 v36, v8, 3, v191
	s_waitcnt vmcnt(0)
	v_pk_mul_f32 v[8:9], v[58:59], v[28:29] op_sel:[0,1]
	ds_write2_b64 v65, v[12:13], v[56:57] offset1:13
	v_pk_fma_f32 v[12:13], v[58:59], v[28:29], v[8:9] op_sel:[0,0,1] op_sel_hi:[1,1,0] neg_lo:[0,0,1] neg_hi:[0,0,1]
	v_pk_fma_f32 v[8:9], v[58:59], v[28:29], v[8:9] op_sel:[0,0,1] op_sel_hi:[1,0,0]
	v_accvgpr_write_b32 a4, v36
	v_mov_b32_e32 v8, v31
	v_mov_b32_e32 v13, v9
	v_pk_mul_f32 v[8:9], v[14:15], v[8:9] op_sel_hi:[1,0]
	s_nop 0
	v_pk_fma_f32 v[56:57], v[14:15], v[30:31], v[8:9] op_sel:[0,0,1] op_sel_hi:[1,1,0] neg_lo:[0,0,1] neg_hi:[0,0,1]
	v_pk_fma_f32 v[8:9], v[14:15], v[30:31], v[8:9] op_sel:[0,0,1] op_sel_hi:[1,0,0]
	s_nop 0
	v_mov_b32_e32 v57, v9
	v_pk_add_f32 v[8:9], v[10:11], v[12:13]
	v_pk_add_f32 v[14:15], v[12:13], v[56:57]
	v_pk_add_f32 v[12:13], v[12:13], v[56:57] neg_lo:[0,1] neg_hi:[0,1]
	v_pk_fma_f32 v[10:11], v[14:15], 0.5, v[10:11] op_sel_hi:[1,0,1] neg_lo:[1,0,0] neg_hi:[1,0,0]
	v_pk_mul_f32 v[12:13], v[12:13], s[6:7] op_sel_hi:[1,0]
	v_pk_add_f32 v[8:9], v[8:9], v[56:57]
	v_pk_add_f32 v[14:15], v[10:11], v[12:13] op_sel:[0,1] op_sel_hi:[1,0]
	v_pk_add_f32 v[10:11], v[10:11], v[12:13] op_sel:[0,1] op_sel_hi:[1,0] neg_lo:[0,1] neg_hi:[0,1]
	v_mov_b32_e32 v12, v14
	v_mov_b32_e32 v13, v11
	ds_write2_b64 v36, v[8:9], v[12:13] offset1:13
	v_mul_u32_u24_e32 v8, 39, v93
	v_mov_b32_e32 v11, v15
	v_accvgpr_write_b32 a5, v8
	ds_write_b64 v36, v[10:11] offset:208
	s_and_saveexec_b64 s[6:7], s[2:3]
	s_cbranch_execz .LBB0_11
; %bb.10:
	v_accvgpr_read_b32 v8, a0
	v_accvgpr_read_b32 v9, a5
	v_add_u32_sdwa v8, v9, v8 dst_sel:DWORD dst_unused:UNUSED_PAD src0_sel:DWORD src1_sel:BYTE_0
	v_pk_add_f32 v[4:5], v[4:5], v[6:7]
	v_lshl_add_u32 v8, v8, 3, v191
	v_pk_add_f32 v[4:5], v[4:5], v[70:71]
	v_mov_b32_e32 v65, v37
	ds_write2_b64 v8, v[4:5], v[64:65] offset1:13
	ds_write_b64 v8, v[38:39] offset:208
.LBB0_11:
	s_or_b64 exec, exec, s[6:7]
	v_mad_u64_u32 v[36:37], s[0:1], v92, 48, s[0:1]
	s_waitcnt lgkmcnt(0)
	s_barrier
	global_load_dwordx4 v[4:7], v[36:37], off offset:224
	global_load_dwordx4 v[12:15], v[36:37], off offset:208
	;; [unrolled: 1-line block ×3, first 2 shown]
	ds_read2_b64 v[62:65], v101 offset0:78 offset1:117
	ds_read2_b64 v[70:73], v101 offset0:156 offset1:195
	v_add_u32_e32 v60, 0x400, v101
	v_add_u32_e32 v76, 0x800, v101
	ds_read2_b64 v[56:59], v101 offset1:39
	ds_read2_b64 v[116:119], v60 offset0:106 offset1:145
	ds_read2_b64 v[120:123], v76 offset0:56 offset1:95
	ds_read2_b64 v[124:127], v76 offset0:134 offset1:173
	ds_read2_b64 v[132:135], v76 offset0:212 offset1:251
	s_waitcnt lgkmcnt(6)
	v_mov_b32_e32 v74, v63
	s_waitcnt lgkmcnt(5)
	v_mov_b32_e32 v129, v70
	;; [unrolled: 2-line block ×3, first 2 shown]
	v_mov_b32_e32 v128, v117
	s_waitcnt lgkmcnt(2)
	v_mov_b32_e32 v138, v121
	s_waitcnt lgkmcnt(1)
	;; [unrolled: 2-line block ×3, first 2 shown]
	v_mov_b32_e32 v142, v133
	v_mov_b32_e32 v143, v120
	;; [unrolled: 1-line block ×10, first 2 shown]
	s_mov_b32 s20, 0x3d64c772
	s_mov_b32 s24, 0x3eae86e6
	;; [unrolled: 1-line block ×12, first 2 shown]
	s_barrier
	s_waitcnt vmcnt(2)
	v_mov_b32_e32 v149, v5
	s_waitcnt vmcnt(1)
	v_mul_f32_e32 v61, v71, v15
	v_mov_b32_e32 v148, v13
	v_mov_b32_e32 v150, v5
	;; [unrolled: 1-line block ×4, first 2 shown]
	s_waitcnt vmcnt(0)
	v_mov_b32_e32 v155, v9
	v_mov_b32_e32 v156, v11
	;; [unrolled: 1-line block ×4, first 2 shown]
	v_mul_f32_e32 v68, v125, v9
	v_mov_b32_e32 v114, v12
	v_mov_b32_e32 v71, v14
	;; [unrolled: 1-line block ×6, first 2 shown]
	v_fma_f32 v125, v70, v14, -v61
	v_pk_mul_f32 v[74:75], v[74:75], v[148:149]
	v_mov_b32_e32 v70, v4
	v_pk_mul_f32 v[128:129], v[128:129], v[150:151]
	v_pk_mul_f32 v[138:139], v[138:139], v[154:155]
	;; [unrolled: 1-line block ×3, first 2 shown]
	v_pk_fma_f32 v[172:173], v[66:67], v[114:115], v[74:75] neg_lo:[0,0,1] neg_hi:[0,0,1]
	v_pk_fma_f32 v[66:67], v[66:67], v[114:115], v[74:75]
	v_pk_fma_f32 v[74:75], v[116:117], v[4:5], v[128:129] neg_lo:[0,0,1] neg_hi:[0,0,1]
	v_pk_fma_f32 v[78:79], v[78:79], v[70:71], v[128:129]
	v_pk_fma_f32 v[116:117], v[120:121], v[6:7], v[138:139] neg_lo:[0,0,1] neg_hi:[0,0,1]
	v_pk_fma_f32 v[120:121], v[136:137], v[152:153], v[138:139]
	v_pk_fma_f32 v[128:129], v[140:141], v[112:113], v[142:143] neg_lo:[0,0,1] neg_hi:[0,0,1]
	v_pk_fma_f32 v[136:137], v[140:141], v[112:113], v[142:143]
	v_mul_f32_e32 v62, v62, v13
	v_mul_f32_e32 v132, v132, v11
	v_fma_f32 v159, v124, v8, -v68
	v_mov_b32_e32 v173, v67
	v_mov_b32_e32 v129, v137
	;; [unrolled: 1-line block ×4, first 2 shown]
	v_fmac_f32_e32 v62, v63, v12
	v_fmac_f32_e32 v132, v133, v10
	v_add_f32_e32 v166, v125, v159
	v_mov_b32_e32 v75, v79
	v_mov_b32_e32 v63, v172
	;; [unrolled: 1-line block ×3, first 2 shown]
	v_pk_add_f32 v[78:79], v[124:125], v[158:159] neg_lo:[0,1] neg_hi:[0,1]
	v_pk_add_f32 v[124:125], v[172:173], v[128:129]
	v_mov_b32_e32 v128, v137
	v_mov_b32_e32 v129, v116
	;; [unrolled: 1-line block ×4, first 2 shown]
	v_add_f32_e32 v165, v62, v132
	v_mov_b32_e32 v117, v121
	v_pk_add_f32 v[62:63], v[62:63], v[132:133] neg_lo:[0,1] neg_hi:[0,1]
	v_pk_add_f32 v[66:67], v[128:129], v[66:67] neg_lo:[0,1] neg_hi:[0,1]
	v_pk_add_f32 v[120:121], v[74:75], v[116:117]
	v_mov_b32_e32 v138, v66
	v_mov_b32_e32 v139, v63
	v_mov_b32_e32 v140, v78
	v_mov_b32_e32 v141, v67
	v_mov_b32_e32 v164, v120
	v_mov_b32_e32 v167, v125
	v_pk_add_f32 v[136:137], v[66:67], v[78:79]
	v_pk_add_f32 v[138:139], v[138:139], v[140:141] neg_lo:[0,1] neg_hi:[0,1]
	v_mov_b32_e32 v140, v62
	v_mov_b32_e32 v67, v79
	v_add_f32_e32 v74, v166, v124
	v_add_f32_e32 v117, v121, v165
	v_pk_add_f32 v[128:129], v[164:165], v[166:167] neg_lo:[0,1] neg_hi:[0,1]
	v_pk_add_f32 v[132:133], v[124:125], v[120:121] neg_lo:[0,1] neg_hi:[0,1]
	;; [unrolled: 1-line block ×3, first 2 shown]
	v_mov_b32_e32 v75, v125
	v_mov_b32_e32 v116, v120
	v_pk_add_f32 v[74:75], v[74:75], v[116:117]
	v_pk_add_f32 v[116:117], v[136:137], v[62:63]
	v_pk_mul_f32 v[128:129], v[128:129], s[20:21]
	v_pk_mul_f32 v[136:137], v[132:133], s[22:23]
	v_pk_mul_f32 v[140:141], v[66:67], s[24:25]
	v_pk_mul_f32 v[138:139], v[138:139], s[26:27]
	v_mov_b32_e32 v167, v121
	v_mov_b32_e32 v125, v165
	v_pk_add_f32 v[56:57], v[56:57], v[74:75]
	v_pk_fma_f32 v[132:133], v[132:133], s[22:23], v[128:129]
	v_pk_fma_f32 v[66:67], v[66:67], s[24:25], v[138:139]
	v_pk_add_f32 v[120:121], v[166:167], v[124:125] neg_lo:[0,1] neg_hi:[0,1]
	v_pk_add_f32 v[62:63], v[78:79], v[62:63] neg_lo:[0,1] neg_hi:[0,1]
	v_mov_b32_e32 v78, v136
	v_mov_b32_e32 v79, v129
	;; [unrolled: 1-line block ×6, first 2 shown]
	v_pk_fma_f32 v[74:75], v[74:75], s[18:19], v[56:57] op_sel_hi:[1,0,1] neg_lo:[1,0,0] neg_hi:[1,0,0]
	v_pk_fma_f32 v[78:79], v[120:121], s[12:13], v[78:79] op_sel_hi:[1,0,1] neg_lo:[1,0,1] neg_hi:[1,0,1]
	;; [unrolled: 1-line block ×5, first 2 shown]
	v_mul_f32_e32 v77, v73, v15
	v_pk_add_f32 v[132:133], v[132:133], v[74:75]
	v_pk_add_f32 v[78:79], v[78:79], v[74:75]
	;; [unrolled: 1-line block ×3, first 2 shown]
	v_pk_fma_f32 v[62:63], v[116:117], s[0:1], v[62:63] op_sel_hi:[1,0,1]
	v_mov_b32_e32 v120, v119
	v_mov_b32_e32 v121, v72
	v_mul_f32_e32 v144, v64, v13
	v_fma_f32 v161, v72, v14, -v77
	v_pk_fma_f32 v[66:67], v[116:117], s[0:1], v[66:67] op_sel_hi:[1,0,1]
	v_pk_fma_f32 v[124:125], v[116:117], s[0:1], v[124:125] op_sel_hi:[1,0,1]
	v_pk_add_f32 v[116:117], v[74:75], v[62:63] neg_lo:[0,1] neg_hi:[0,1]
	v_pk_add_f32 v[62:63], v[74:75], v[62:63]
	v_mov_b32_e32 v74, v118
	v_mov_b32_e32 v75, v73
	v_pk_mul_f32 v[72:73], v[120:121], v[150:151]
	v_fmac_f32_e32 v144, v65, v12
	v_pk_fma_f32 v[120:121], v[118:119], v[4:5], v[72:73] neg_lo:[0,0,1] neg_hi:[0,0,1]
	v_pk_fma_f32 v[70:71], v[74:75], v[70:71], v[72:73]
	v_mov_b32_e32 v72, v64
	v_mov_b32_e32 v64, v65
	;; [unrolled: 1-line block ×3, first 2 shown]
	v_mul_f32_e32 v93, v127, v9
	v_mov_b32_e32 v73, v119
	v_pk_mul_f32 v[64:65], v[64:65], v[148:149]
	v_mov_b32_e32 v118, v123
	v_mov_b32_e32 v119, v126
	v_fma_f32 v163, v126, v8, -v93
	v_pk_fma_f32 v[74:75], v[72:73], v[114:115], v[64:65] neg_lo:[0,0,1] neg_hi:[0,0,1]
	v_pk_fma_f32 v[64:65], v[72:73], v[114:115], v[64:65]
	v_mov_b32_e32 v72, v122
	v_mov_b32_e32 v73, v127
	v_pk_mul_f32 v[118:119], v[118:119], v[154:155]
	v_mov_b32_e32 v126, v135
	v_mov_b32_e32 v127, v122
	v_pk_add_f32 v[142:143], v[132:133], v[66:67]
	v_pk_add_f32 v[66:67], v[132:133], v[66:67] neg_lo:[0,1] neg_hi:[0,1]
	v_pk_add_f32 v[132:133], v[78:79], v[124:125]
	v_pk_add_f32 v[78:79], v[78:79], v[124:125] neg_lo:[0,1] neg_hi:[0,1]
	v_pk_fma_f32 v[124:125], v[122:123], v[6:7], v[118:119] neg_lo:[0,0,1] neg_hi:[0,0,1]
	v_pk_fma_f32 v[72:73], v[72:73], v[152:153], v[118:119]
	v_mov_b32_e32 v118, v134
	v_mov_b32_e32 v119, v123
	v_pk_mul_f32 v[122:123], v[126:127], v[156:157]
	v_mul_f32_e32 v146, v134, v11
	v_pk_fma_f32 v[126:127], v[118:119], v[112:113], v[122:123] neg_lo:[0,0,1] neg_hi:[0,0,1]
	v_pk_fma_f32 v[118:119], v[118:119], v[112:113], v[122:123]
	v_fmac_f32_e32 v146, v135, v10
	v_mov_b32_e32 v121, v71
	v_mov_b32_e32 v75, v65
	;; [unrolled: 1-line block ×12, first 2 shown]
	v_add_f32_e32 v169, v144, v146
	v_add_f32_e32 v170, v161, v163
	v_pk_add_f32 v[122:123], v[144:145], v[146:147] neg_lo:[0,1] neg_hi:[0,1]
	v_pk_add_f32 v[70:71], v[160:161], v[162:163] neg_lo:[0,1] neg_hi:[0,1]
	v_pk_add_f32 v[72:73], v[120:121], v[124:125]
	v_pk_add_f32 v[74:75], v[74:75], v[126:127]
	v_pk_add_f32 v[64:65], v[118:119], v[64:65] neg_lo:[0,1] neg_hi:[0,1]
	v_add_f32_e32 v118, v170, v74
	v_add_f32_e32 v121, v73, v169
	v_mov_b32_e32 v168, v72
	v_mov_b32_e32 v171, v75
	;; [unrolled: 1-line block ×8, first 2 shown]
	v_pk_add_f32 v[124:125], v[168:169], v[170:171] neg_lo:[0,1] neg_hi:[0,1]
	v_pk_add_f32 v[128:129], v[64:65], v[70:71]
	v_pk_add_f32 v[134:135], v[134:135], v[136:137] neg_lo:[0,1] neg_hi:[0,1]
	v_mov_b32_e32 v136, v122
	v_mov_b32_e32 v65, v71
	v_pk_add_f32 v[118:119], v[118:119], v[120:121]
	v_pk_add_f32 v[126:127], v[74:75], v[72:73] neg_lo:[0,1] neg_hi:[0,1]
	v_pk_add_f32 v[64:65], v[136:137], v[64:65] neg_lo:[0,1] neg_hi:[0,1]
	v_pk_add_f32 v[58:59], v[58:59], v[118:119]
	v_pk_mul_f32 v[124:125], v[124:125], s[20:21]
	v_pk_mul_f32 v[134:135], v[134:135], s[26:27]
	v_pk_add_f32 v[120:121], v[128:129], v[122:123]
	v_pk_mul_f32 v[128:129], v[126:127], s[22:23]
	v_pk_mul_f32 v[136:137], v[64:65], s[24:25]
	v_pk_fma_f32 v[118:119], v[118:119], s[18:19], v[58:59] op_sel_hi:[1,0,1] neg_lo:[1,0,0] neg_hi:[1,0,0]
	v_pk_fma_f32 v[126:127], v[126:127], s[22:23], v[124:125]
	v_pk_fma_f32 v[64:65], v[64:65], s[24:25], v[134:135]
	v_pk_add_f32 v[126:127], v[126:127], v[118:119]
	v_pk_fma_f32 v[64:65], v[120:121], s[0:1], v[64:65] op_sel_hi:[1,0,1]
	v_mov_b32_e32 v171, v73
	v_pk_add_f32 v[138:139], v[126:127], v[64:65] neg_lo:[0,1] neg_hi:[0,1]
	v_pk_add_f32 v[64:65], v[126:127], v[64:65]
	v_mov_b32_e32 v126, v142
	v_mov_b32_e32 v127, v67
	ds_write2_b64 v101, v[56:57], v[126:127] offset1:39
	v_mov_b32_e32 v57, v79
	v_mov_b32_e32 v127, v63
	;; [unrolled: 1-line block ×6, first 2 shown]
	ds_write2_b64 v101, v[62:63], v[78:79] offset0:156 offset1:195
	ds_write2_b64 v60, v[66:67], v[58:59] offset0:106 offset1:145
	v_pk_add_f32 v[58:59], v[170:171], v[74:75] neg_lo:[0,1] neg_hi:[0,1]
	v_pk_add_f32 v[62:63], v[70:71], v[122:123] neg_lo:[0,1] neg_hi:[0,1]
	v_mov_b32_e32 v66, v128
	v_mov_b32_e32 v67, v125
	;; [unrolled: 1-line block ×4, first 2 shown]
	v_pk_fma_f32 v[66:67], v[58:59], s[12:13], v[66:67] op_sel_hi:[1,0,1] neg_lo:[1,0,1] neg_hi:[1,0,1]
	v_pk_fma_f32 v[70:71], v[62:63], s[6:7], v[70:71] op_sel_hi:[1,0,1] neg_lo:[1,0,1] neg_hi:[1,0,1]
	v_pk_add_f32 v[66:67], v[66:67], v[118:119]
	v_pk_fma_f32 v[70:71], v[120:121], s[0:1], v[70:71] op_sel_hi:[1,0,1]
	v_mov_b32_e32 v56, v132
	v_mov_b32_e32 v126, v116
	v_pk_add_f32 v[72:73], v[66:67], v[70:71] neg_lo:[0,1] neg_hi:[0,1]
	v_pk_add_f32 v[66:67], v[66:67], v[70:71]
	ds_write2_b64 v101, v[56:57], v[126:127] offset0:78 offset1:117
	v_mov_b32_e32 v56, v64
	v_mov_b32_e32 v57, v139
	;; [unrolled: 1-line block ×6, first 2 shown]
	ds_write2_b64 v76, v[56:57], v[70:71] offset0:56 offset1:95
	v_pk_fma_f32 v[56:57], v[58:59], s[12:13], v[124:125] op_sel_hi:[1,0,1] neg_lo:[0,0,1] neg_hi:[0,0,1]
	v_pk_fma_f32 v[58:59], v[62:63], s[6:7], v[134:135] op_sel_hi:[1,0,1] neg_lo:[0,0,1] neg_hi:[0,0,1]
	v_pk_add_f32 v[56:57], v[56:57], v[118:119]
	v_pk_fma_f32 v[58:59], v[120:121], s[0:1], v[58:59] op_sel_hi:[1,0,1]
	v_mov_b32_e32 v73, v67
	v_pk_add_f32 v[62:63], v[56:57], v[58:59]
	v_pk_add_f32 v[56:57], v[56:57], v[58:59] neg_lo:[0,1] neg_hi:[0,1]
	v_mov_b32_e32 v59, v63
	v_mov_b32_e32 v58, v56
	;; [unrolled: 1-line block ×3, first 2 shown]
	v_mul_hi_i32_i24_e32 v57, 0xffffffd8, v92
	v_mul_i32_i24_e32 v56, 0xffffffd8, v92
	v_mov_b32_e32 v139, v65
	v_lshl_add_u64 v[36:37], v[36:37], 0, v[56:57]
	ds_write2_b64 v76, v[58:59], v[62:63] offset0:134 offset1:173
	ds_write2_b64 v76, v[72:73], v[138:139] offset0:212 offset1:251
	s_waitcnt lgkmcnt(0)
	s_barrier
	global_load_dwordx2 v[116:117], v[36:37], off offset:3952
	global_load_dwordx2 v[126:127], v[36:37], off offset:2392
	;; [unrolled: 1-line block ×7, first 2 shown]
	ds_read2_b64 v[56:59], v76 offset0:212 offset1:251
	ds_read2_b64 v[62:65], v60 offset0:106 offset1:145
	v_lshlrev_b32_e32 v68, 3, v92
	v_lshl_add_u64 v[78:79], s[16:17], 0, v[68:69]
	ds_read2_b64 v[66:69], v76 offset0:56 offset1:95
	ds_read2_b64 v[132:135], v76 offset0:134 offset1:173
	v_lshl_add_u32 v93, v92, 3, v191
	v_add_u32_e32 v4, 0x800, v93
	s_movk_i32 s0, 0x1000
	s_waitcnt vmcnt(6) lgkmcnt(3)
	v_pk_mul_f32 v[36:37], v[58:59], v[116:117] op_sel:[0,1]
	s_nop 0
	v_pk_fma_f32 v[70:71], v[58:59], v[116:117], v[36:37] op_sel:[0,0,1] op_sel_hi:[1,1,0] neg_lo:[0,0,1] neg_hi:[0,0,1]
	v_pk_fma_f32 v[36:37], v[58:59], v[116:117], v[36:37] op_sel:[0,0,1] op_sel_hi:[1,0,0]
	s_waitcnt vmcnt(5) lgkmcnt(1)
	v_pk_mul_f32 v[58:59], v[66:67], v[126:127] op_sel:[0,1]
	v_mov_b32_e32 v71, v37
	v_pk_add_f32 v[36:37], v[62:63], v[70:71] neg_lo:[0,1] neg_hi:[0,1]
	ds_read2_b64 v[70:73], v101 offset1:39
	v_pk_fma_f32 v[74:75], v[66:67], v[126:127], v[58:59] op_sel:[0,0,1] op_sel_hi:[1,1,0] neg_lo:[0,0,1] neg_hi:[0,0,1]
	v_pk_fma_f32 v[58:59], v[66:67], v[126:127], v[58:59] op_sel:[0,0,1] op_sel_hi:[1,0,0]
	s_waitcnt vmcnt(4)
	v_pk_mul_f32 v[66:67], v[68:69], v[124:125] op_sel:[0,1]
	v_mov_b32_e32 v75, v59
	s_waitcnt lgkmcnt(0)
	v_pk_add_f32 v[58:59], v[72:73], v[74:75] neg_lo:[0,1] neg_hi:[0,1]
	v_pk_fma_f32 v[138:139], v[68:69], v[124:125], v[66:67] op_sel:[0,0,1] op_sel_hi:[1,1,0] neg_lo:[0,0,1] neg_hi:[0,0,1]
	v_pk_fma_f32 v[136:137], v[72:73], 2.0, v[58:59] op_sel_hi:[1,0,1] neg_lo:[0,0,1] neg_hi:[0,0,1]
	ds_read2_b64 v[72:75], v101 offset0:78 offset1:117
	v_pk_fma_f32 v[66:67], v[68:69], v[124:125], v[66:67] op_sel:[0,0,1] op_sel_hi:[1,0,0]
	s_waitcnt vmcnt(2)
	v_pk_mul_f32 v[140:141], v[134:135], v[120:121] op_sel:[0,1]
	v_mov_b32_e32 v139, v67
	v_pk_mul_f32 v[66:67], v[132:133], v[122:123] op_sel:[0,1]
	v_pk_fma_f32 v[142:143], v[134:135], v[120:121], v[140:141] op_sel:[0,0,1] op_sel_hi:[1,1,0] neg_lo:[0,0,1] neg_hi:[0,0,1]
	v_pk_fma_f32 v[68:69], v[132:133], v[122:123], v[66:67] op_sel:[0,0,1] op_sel_hi:[1,1,0] neg_lo:[0,0,1] neg_hi:[0,0,1]
	v_pk_fma_f32 v[66:67], v[132:133], v[122:123], v[66:67] op_sel:[0,0,1] op_sel_hi:[1,0,0]
	v_pk_fma_f32 v[134:135], v[134:135], v[120:121], v[140:141] op_sel:[0,0,1] op_sel_hi:[1,0,0]
	v_mov_b32_e32 v69, v67
	s_waitcnt lgkmcnt(0)
	v_pk_add_f32 v[132:133], v[74:75], v[68:69] neg_lo:[0,1] neg_hi:[0,1]
	ds_read2_b64 v[66:69], v101 offset0:156 offset1:195
	v_mov_b32_e32 v143, v135
	s_waitcnt vmcnt(1)
	v_pk_mul_f32 v[140:141], v[56:57], v[118:119] op_sel:[0,1]
	v_pk_add_f32 v[138:139], v[72:73], v[138:139] neg_lo:[0,1] neg_hi:[0,1]
	v_pk_fma_f32 v[74:75], v[74:75], 2.0, v[132:133] op_sel_hi:[1,0,1] neg_lo:[0,0,1] neg_hi:[0,0,1]
	s_waitcnt lgkmcnt(0)
	v_pk_add_f32 v[134:135], v[66:67], v[142:143] neg_lo:[0,1] neg_hi:[0,1]
	v_pk_fma_f32 v[142:143], v[56:57], v[118:119], v[140:141] op_sel:[0,0,1] op_sel_hi:[1,1,0] neg_lo:[0,0,1] neg_hi:[0,0,1]
	v_pk_fma_f32 v[56:57], v[56:57], v[118:119], v[140:141] op_sel:[0,0,1] op_sel_hi:[1,0,0]
	s_waitcnt vmcnt(0)
	v_pk_mul_f32 v[140:141], v[64:65], v[128:129] op_sel:[0,1]
	v_mov_b32_e32 v143, v57
	v_pk_add_f32 v[56:57], v[68:69], v[142:143] neg_lo:[0,1] neg_hi:[0,1]
	v_pk_fma_f32 v[142:143], v[64:65], v[128:129], v[140:141] op_sel:[0,0,1] op_sel_hi:[1,1,0] neg_lo:[0,0,1] neg_hi:[0,0,1]
	v_pk_fma_f32 v[64:65], v[64:65], v[128:129], v[140:141] op_sel:[0,0,1] op_sel_hi:[1,0,0]
	v_pk_fma_f32 v[72:73], v[72:73], 2.0, v[138:139] op_sel_hi:[1,0,1] neg_lo:[0,0,1] neg_hi:[0,0,1]
	v_mov_b32_e32 v143, v65
	v_pk_add_f32 v[64:65], v[70:71], v[142:143] neg_lo:[0,1] neg_hi:[0,1]
	v_pk_fma_f32 v[66:67], v[66:67], 2.0, v[134:135] op_sel_hi:[1,0,1] neg_lo:[0,0,1] neg_hi:[0,0,1]
	v_pk_fma_f32 v[70:71], v[70:71], 2.0, v[64:65] op_sel_hi:[1,0,1] neg_lo:[0,0,1] neg_hi:[0,0,1]
	;; [unrolled: 1-line block ×3, first 2 shown]
	ds_write_b64 v101, v[70:71]
	ds_write2_b64 v4, v[64:65], v[58:59] offset0:17 offset1:56
	ds_write2_b64 v93, v[136:137], v[72:73] offset0:39 offset1:78
	;; [unrolled: 1-line block ×4, first 2 shown]
	ds_write_b64 v93, v[134:135] offset:3432
	ds_write_b64 v93, v[68:69] offset:1560
	;; [unrolled: 1-line block ×3, first 2 shown]
	v_pk_fma_f32 v[56:57], v[62:63], 2.0, v[36:37] op_sel_hi:[1,0,1] neg_lo:[0,0,1] neg_hi:[0,0,1]
	ds_write_b64 v93, v[56:57] offset:1872
	ds_write_b64 v101, v[36:37] offset:4056
	v_add_co_u32_e32 v56, vcc, s0, v78
	s_waitcnt lgkmcnt(0)
	s_nop 0
	v_addc_co_u32_e32 v57, vcc, 0, v79, vcc
	s_barrier
	global_load_dwordx2 v[58:59], v[56:57], off offset:272
	s_mov_b64 s[0:1], 0x1110
	v_lshl_add_u64 v[56:57], v[78:79], 0, s[0:1]
	global_load_dwordx2 v[70:71], v[56:57], off offset:336
	global_load_dwordx2 v[72:73], v[56:57], off offset:672
	;; [unrolled: 1-line block ×12, first 2 shown]
	ds_read2_b64 v[62:65], v101 offset1:42
	ds_read2_b64 v[66:69], v101 offset0:84 offset1:126
	s_waitcnt vmcnt(12) lgkmcnt(1)
	v_mul_f32_e32 v61, v63, v59
	v_mul_f32_e32 v149, v62, v59
	v_fma_f32 v148, v62, v58, -v61
	v_fmac_f32_e32 v149, v63, v58
	s_waitcnt vmcnt(11)
	v_mul_f32_e32 v58, v65, v71
	v_mul_f32_e32 v59, v64, v71
	v_fma_f32 v58, v64, v70, -v58
	v_fmac_f32_e32 v59, v65, v70
	ds_read2_b64 v[62:65], v101 offset0:168 offset1:210
	ds_write2_b64 v101, v[148:149], v[58:59] offset1:42
	s_waitcnt vmcnt(10) lgkmcnt(2)
	v_mul_f32_e32 v59, v66, v73
	v_mul_f32_e32 v58, v67, v73
	v_fmac_f32_e32 v59, v67, v72
	s_waitcnt vmcnt(9)
	v_mul_f32_e32 v61, v69, v75
	v_mul_f32_e32 v67, v68, v75
	v_fma_f32 v58, v66, v72, -v58
	v_fma_f32 v66, v68, v74, -v61
	v_fmac_f32_e32 v67, v69, v74
	ds_write2_b64 v101, v[58:59], v[66:67] offset0:84 offset1:126
	s_waitcnt vmcnt(8) lgkmcnt(2)
	v_mul_f32_e32 v59, v62, v79
	ds_read2_b64 v[66:69], v60 offset0:124 offset1:166
	v_mul_f32_e32 v58, v63, v79
	v_fmac_f32_e32 v59, v63, v78
	s_waitcnt vmcnt(7)
	v_mul_f32_e32 v61, v65, v133
	v_mul_f32_e32 v63, v64, v133
	v_fma_f32 v58, v62, v78, -v58
	v_fma_f32 v62, v64, v132, -v61
	v_fmac_f32_e32 v63, v65, v132
	ds_write2_b64 v101, v[58:59], v[62:63] offset0:168 offset1:210
	ds_read2_b64 v[62:65], v76 offset0:80 offset1:122
	s_waitcnt vmcnt(6) lgkmcnt(2)
	v_mul_f32_e32 v59, v66, v135
	v_mul_f32_e32 v58, v67, v135
	v_fmac_f32_e32 v59, v67, v134
	s_waitcnt vmcnt(5)
	v_mul_f32_e32 v61, v69, v137
	v_mul_f32_e32 v67, v68, v137
	v_fma_f32 v58, v66, v134, -v58
	v_fma_f32 v66, v68, v136, -v61
	v_fmac_f32_e32 v67, v69, v136
	ds_write2_b64 v60, v[58:59], v[66:67] offset0:124 offset1:166
	s_waitcnt vmcnt(4) lgkmcnt(1)
	v_mul_f32_e32 v59, v62, v139
	v_mul_f32_e32 v58, v63, v139
	v_fmac_f32_e32 v59, v63, v138
	s_waitcnt vmcnt(3)
	v_mul_f32_e32 v61, v65, v141
	ds_read2_b64 v[66:69], v76 offset0:164 offset1:206
	v_mul_f32_e32 v63, v64, v141
	v_fma_f32 v58, v62, v138, -v58
	v_fma_f32 v62, v64, v140, -v61
	v_fmac_f32_e32 v63, v65, v140
	ds_write2_b64 v76, v[58:59], v[62:63] offset0:80 offset1:122
	ds_read_b64 v[62:63], v101 offset:4032
	s_waitcnt vmcnt(2) lgkmcnt(2)
	v_mul_f32_e32 v58, v67, v143
	v_mul_f32_e32 v59, v66, v143
	s_waitcnt vmcnt(1)
	v_mul_f32_e32 v61, v69, v145
	v_mul_f32_e32 v65, v68, v145
	v_fma_f32 v58, v66, v142, -v58
	v_fmac_f32_e32 v59, v67, v142
	v_fma_f32 v64, v68, v144, -v61
	v_fmac_f32_e32 v65, v69, v144
	ds_write2_b64 v76, v[58:59], v[64:65] offset0:164 offset1:206
	s_waitcnt vmcnt(0) lgkmcnt(1)
	v_mul_f32_e32 v58, v63, v147
	v_mul_f32_e32 v59, v62, v147
	v_fma_f32 v58, v62, v146, -v58
	v_fmac_f32_e32 v59, v63, v146
	ds_write_b64 v101, v[58:59] offset:4032
	s_and_saveexec_b64 s[0:1], s[4:5]
	s_cbranch_execz .LBB0_13
; %bb.12:
	global_load_dwordx2 v[74:75], v[56:57], off offset:312
	global_load_dwordx2 v[78:79], v[56:57], off offset:648
	;; [unrolled: 1-line block ×12, first 2 shown]
	v_add_co_u32_e32 v56, vcc, 0x1000, v56
	s_nop 1
	v_addc_co_u32_e32 v57, vcc, 0, v57, vcc
	global_load_dwordx2 v[160:161], v[56:57], off offset:248
	ds_read2_b64 v[56:59], v93 offset0:39 offset1:81
	ds_read2_b64 v[62:65], v93 offset0:123 offset1:165
	;; [unrolled: 1-line block ×6, first 2 shown]
	ds_read_b64 v[162:163], v93 offset:4344
	s_waitcnt vmcnt(12) lgkmcnt(6)
	v_mul_f32_e32 v61, v57, v75
	v_mul_f32_e32 v165, v56, v75
	s_waitcnt vmcnt(11)
	v_mul_f32_e32 v77, v59, v79
	v_mul_f32_e32 v75, v58, v79
	s_waitcnt vmcnt(10) lgkmcnt(5)
	v_mul_f32_e32 v166, v63, v141
	v_mul_f32_e32 v79, v62, v141
	s_waitcnt vmcnt(9)
	v_mul_f32_e32 v167, v65, v143
	v_mul_f32_e32 v141, v64, v143
	;; [unrolled: 6-line block ×6, first 2 shown]
	v_fma_f32 v164, v56, v74, -v61
	v_fmac_f32_e32 v165, v57, v74
	v_fma_f32 v74, v58, v78, -v77
	v_fmac_f32_e32 v75, v59, v78
	;; [unrolled: 2-line block ×12, first 2 shown]
	ds_write2_b64 v93, v[164:165], v[74:75] offset0:39 offset1:81
	ds_write2_b64 v93, v[78:79], v[140:141] offset0:123 offset1:165
	;; [unrolled: 1-line block ×6, first 2 shown]
	s_waitcnt vmcnt(0) lgkmcnt(6)
	v_mul_f32_e32 v4, v163, v161
	v_mul_f32_e32 v57, v162, v161
	v_fma_f32 v56, v162, v160, -v4
	v_fmac_f32_e32 v57, v163, v160
	ds_write_b64 v93, v[56:57] offset:4344
.LBB0_13:
	s_or_b64 exec, exec, s[0:1]
	s_waitcnt lgkmcnt(0)
	s_barrier
	ds_read2_b64 v[56:59], v101 offset1:42
	ds_read2_b64 v[72:75], v101 offset0:84 offset1:126
	ds_read2_b64 v[64:67], v101 offset0:168 offset1:210
	;; [unrolled: 1-line block ×5, first 2 shown]
	ds_read_b64 v[162:163], v101 offset:4032
	s_and_saveexec_b64 s[0:1], s[4:5]
	s_cbranch_execz .LBB0_15
; %bb.14:
	v_add_u32_e32 v4, 0x800, v93
	ds_read2_b64 v[36:39], v93 offset0:39 offset1:81
	ds_read2_b64 v[32:35], v93 offset0:123 offset1:165
	;; [unrolled: 1-line block ×6, first 2 shown]
	ds_read_b64 v[130:131], v93 offset:4344
.LBB0_15:
	s_or_b64 exec, exec, s[0:1]
	s_waitcnt lgkmcnt(6)
	v_pk_add_f32 v[132:133], v[38:39], v[36:37]
	s_waitcnt lgkmcnt(0)
	v_pk_add_f32 v[160:161], v[38:39], v[130:131] neg_lo:[0,1] neg_hi:[0,1]
	v_pk_add_f32 v[132:133], v[32:33], v[132:133]
	s_mov_b32 s40, 0xbeedf032
	v_pk_add_f32 v[132:133], v[34:35], v[132:133]
	v_pk_add_f32 v[158:159], v[130:131], v[38:39]
	;; [unrolled: 1-line block ×5, first 2 shown]
	v_pk_add_f32 v[156:157], v[32:33], v[42:43] neg_lo:[0,1] neg_hi:[0,1]
	v_pk_add_f32 v[132:133], v[52:53], v[132:133]
	s_mov_b32 s12, 0x3f62ad3f
	v_pk_add_f32 v[132:133], v[54:55], v[132:133]
	v_pk_mul_f32 v[32:33], v[160:161], s[40:41] op_sel_hi:[1,0]
	v_pk_add_f32 v[132:133], v[48:49], v[132:133]
	s_mov_b32 s24, 0xbf52af12
	v_pk_add_f32 v[132:133], v[50:51], v[132:133]
	v_pk_add_f32 v[150:151], v[40:41], v[34:35]
	;; [unrolled: 1-line block ×3, first 2 shown]
	v_pk_add_f32 v[152:153], v[34:35], v[40:41] neg_lo:[0,1] neg_hi:[0,1]
	v_pk_add_f32 v[132:133], v[42:43], v[132:133]
	v_pk_fma_f32 v[34:35], v[158:159], s[12:13], v[32:33] op_sel:[0,0,1] op_sel_hi:[1,0,0]
	v_pk_fma_f32 v[38:39], v[158:159], s[12:13], v[32:33] op_sel:[0,0,1] op_sel_hi:[1,0,0] neg_lo:[0,0,1] neg_hi:[0,0,1]
	s_mov_b32 s6, 0x3f116cb1
	v_pk_mul_f32 v[42:43], v[156:157], s[24:25] op_sel_hi:[1,0]
	s_mov_b32 s34, 0xbf7e222b
	v_pk_add_f32 v[146:147], v[50:51], v[44:45]
	v_pk_add_f32 v[148:149], v[44:45], v[50:51] neg_lo:[0,1] neg_hi:[0,1]
	v_pk_add_f32 v[142:143], v[48:49], v[46:47]
	v_pk_add_f32 v[144:145], v[46:47], v[48:49] neg_lo:[0,1] neg_hi:[0,1]
	v_mov_b32_e32 v32, v34
	v_mov_b32_e32 v33, v39
	v_pk_fma_f32 v[44:45], v[154:155], s[6:7], v[42:43] op_sel:[0,0,1] op_sel_hi:[1,0,0]
	v_pk_fma_f32 v[42:43], v[154:155], s[6:7], v[42:43] op_sel:[0,0,1] op_sel_hi:[1,0,0] neg_lo:[0,0,1] neg_hi:[0,0,1]
	s_mov_b32 s0, 0x3df6dbef
	v_pk_mul_f32 v[46:47], v[152:153], s[34:35] op_sel_hi:[1,0]
	s_mov_b32 s18, 0xbf6f5d39
	v_pk_add_f32 v[32:33], v[36:37], v[32:33]
	v_accvgpr_write_b32 a9, v45
	v_mov_b32_e32 v45, v43
	v_pk_fma_f32 v[48:49], v[150:151], s[0:1], v[46:47] op_sel:[0,0,1] op_sel_hi:[1,0,0]
	v_pk_fma_f32 v[46:47], v[150:151], s[0:1], v[46:47] op_sel:[0,0,1] op_sel_hi:[1,0,0] neg_lo:[0,0,1] neg_hi:[0,0,1]
	s_mov_b32 s16, 0xbeb58ec6
	v_pk_mul_f32 v[50:51], v[148:149], s[18:19] op_sel_hi:[1,0]
	s_mov_b32 s22, 0xbf29c268
	v_pk_add_f32 v[138:139], v[54:55], v[52:53]
	v_pk_add_f32 v[140:141], v[52:53], v[54:55] neg_lo:[0,1] neg_hi:[0,1]
	v_pk_add_f32 v[32:33], v[44:45], v[32:33]
	v_accvgpr_write_b32 a11, v49
	v_mov_b32_e32 v49, v47
	v_pk_fma_f32 v[52:53], v[146:147], s[16:17], v[50:51] op_sel:[0,0,1] op_sel_hi:[1,0,0]
	v_pk_fma_f32 v[50:51], v[146:147], s[16:17], v[50:51] op_sel:[0,0,1] op_sel_hi:[1,0,0] neg_lo:[0,0,1] neg_hi:[0,0,1]
	s_mov_b32 s20, 0xbf3f9e67
	v_pk_mul_f32 v[54:55], v[144:145], s[22:23] op_sel_hi:[1,0]
	v_pk_add_f32 v[132:133], v[130:131], v[132:133]
	v_pk_add_f32 v[32:33], v[48:49], v[32:33]
	v_accvgpr_write_b32 a13, v53
	v_mov_b32_e32 v53, v51
	v_pk_fma_f32 v[130:131], v[142:143], s[20:21], v[54:55] op_sel:[0,0,1] op_sel_hi:[1,0,0]
	v_pk_fma_f32 v[54:55], v[142:143], s[20:21], v[54:55] op_sel:[0,0,1] op_sel_hi:[1,0,0] neg_lo:[0,0,1] neg_hi:[0,0,1]
	v_pk_add_f32 v[32:33], v[52:53], v[32:33]
	v_accvgpr_write_b32 a15, v131
	v_mov_b32_e32 v131, v55
	s_mov_b32 s28, 0xbe750f2a
	v_pk_add_f32 v[32:33], v[130:131], v[32:33]
	s_mov_b32 s26, 0xbf788fa5
	v_pk_mul_f32 v[130:131], v[140:141], s[28:29] op_sel_hi:[1,0]
	v_accvgpr_write_b32 a7, v35
	v_pk_fma_f32 v[34:35], v[138:139], s[26:27], v[130:131] op_sel:[0,0,1] op_sel_hi:[1,0,0]
	v_pk_fma_f32 v[136:137], v[138:139], s[26:27], v[130:131] op_sel:[0,0,1] op_sel_hi:[1,0,0] neg_lo:[0,0,1] neg_hi:[0,0,1]
	v_pk_add_f32 v[164:165], v[56:57], v[58:59]
	v_mov_b32_e32 v130, v34
	v_mov_b32_e32 v131, v137
	v_pk_add_f32 v[130:131], v[130:131], v[32:33]
	v_pk_add_f32 v[32:33], v[164:165], v[72:73]
	v_pk_add_f32 v[168:169], v[58:59], v[162:163] neg_lo:[0,1] neg_hi:[0,1]
	v_pk_add_f32 v[32:33], v[32:33], v[74:75]
	v_pk_add_f32 v[164:165], v[162:163], v[58:59]
	v_pk_add_f32 v[32:33], v[32:33], v[64:65]
	v_pk_add_f32 v[172:173], v[72:73], v[78:79] neg_lo:[0,1] neg_hi:[0,1]
	v_pk_add_f32 v[32:33], v[32:33], v[66:67]
	;; [unrolled: 4-line block ×3, first 2 shown]
	v_pk_add_f32 v[178:179], v[64:65], v[70:71] neg_lo:[0,1] neg_hi:[0,1]
	v_pk_add_f32 v[32:33], v[32:33], v[68:69]
	s_mov_b32 s36, 0x3f29c268
	v_pk_add_f32 v[32:33], v[32:33], v[70:71]
	v_pk_add_f32 v[182:183], v[66:67], v[68:69] neg_lo:[0,1] neg_hi:[0,1]
	v_pk_add_f32 v[32:33], v[32:33], v[76:77]
	s_mov_b32 s30, 0x3f7e222b
	v_pk_add_f32 v[32:33], v[32:33], v[78:79]
	v_pk_mul_f32 v[78:79], v[172:173], s[18:19] op_sel_hi:[1,0]
	v_pk_add_f32 v[198:199], v[32:33], v[162:163]
	v_pk_mul_f32 v[32:33], v[168:169], s[24:25] op_sel_hi:[1,0]
	v_pk_fma_f32 v[72:73], v[166:167], s[16:17], v[78:79] op_sel:[0,0,1] op_sel_hi:[1,0,0]
	v_pk_fma_f32 v[58:59], v[164:165], s[6:7], v[32:33] op_sel:[0,0,1] op_sel_hi:[1,0,0]
	v_pk_fma_f32 v[162:163], v[164:165], s[6:7], v[32:33] op_sel:[0,0,1] op_sel_hi:[1,0,0] neg_lo:[0,0,1] neg_hi:[0,0,1]
	v_mov_b32_e32 v32, v58
	v_mov_b32_e32 v33, v163
	v_pk_fma_f32 v[78:79], v[166:167], s[16:17], v[78:79] op_sel:[0,0,1] op_sel_hi:[1,0,0] neg_lo:[0,0,1] neg_hi:[0,0,1]
	v_pk_add_f32 v[32:33], v[56:57], v[32:33]
	v_mov_b32_e32 v170, v72
	v_mov_b32_e32 v171, v79
	v_pk_add_f32 v[32:33], v[170:171], v[32:33]
	v_pk_add_f32 v[170:171], v[76:77], v[74:75]
	v_pk_mul_f32 v[76:77], v[176:177], s[28:29] op_sel_hi:[1,0]
	s_mov_b32 s13, s40
	v_pk_fma_f32 v[74:75], v[170:171], s[26:27], v[76:77] op_sel:[0,0,1] op_sel_hi:[1,0,0]
	v_pk_fma_f32 v[76:77], v[170:171], s[26:27], v[76:77] op_sel:[0,0,1] op_sel_hi:[1,0,0] neg_lo:[0,0,1] neg_hi:[0,0,1]
	v_mov_b32_e32 v174, v74
	v_mov_b32_e32 v175, v77
	v_pk_add_f32 v[32:33], v[174:175], v[32:33]
	v_pk_add_f32 v[174:175], v[70:71], v[64:65]
	v_pk_mul_f32 v[70:71], v[178:179], s[36:37] op_sel_hi:[1,0]
	v_pk_add_f32 v[186:187], v[60:61], v[62:63] neg_lo:[0,1] neg_hi:[0,1]
	v_pk_fma_f32 v[64:65], v[174:175], s[20:21], v[70:71] op_sel:[0,0,1] op_sel_hi:[1,0,0]
	v_pk_fma_f32 v[70:71], v[174:175], s[20:21], v[70:71] op_sel:[0,0,1] op_sel_hi:[1,0,0] neg_lo:[0,0,1] neg_hi:[0,0,1]
	v_mov_b32_e32 v180, v64
	v_mov_b32_e32 v181, v71
	v_pk_add_f32 v[32:33], v[180:181], v[32:33]
	v_pk_add_f32 v[180:181], v[68:69], v[66:67]
	v_pk_mul_f32 v[68:69], v[182:183], s[30:31] op_sel_hi:[1,0]
	v_mov_b32_e32 v202, v169
	v_pk_fma_f32 v[66:67], v[180:181], s[0:1], v[68:69] op_sel:[0,0,1] op_sel_hi:[1,0,0]
	v_pk_fma_f32 v[68:69], v[180:181], s[0:1], v[68:69] op_sel:[0,0,1] op_sel_hi:[1,0,0] neg_lo:[0,0,1] neg_hi:[0,0,1]
	v_mov_b32_e32 v184, v66
	v_mov_b32_e32 v185, v69
	v_pk_add_f32 v[200:201], v[184:185], v[32:33]
	v_mov_b32_e32 v32, v164
	v_mov_b32_e32 v33, v168
	v_pk_add_f32 v[184:185], v[62:63], v[60:61]
	v_mov_b32_e32 v203, v165
	s_mov_b32 s41, s12
	v_pk_mul_f32 v[204:205], v[32:33], s[12:13]
	v_mov_b32_e32 v60, v166
	v_mov_b32_e32 v61, v172
	s_mov_b32 s7, s24
	v_pk_fma_f32 v[32:33], v[202:203], s[40:41], v[204:205] neg_lo:[1,0,0] neg_hi:[1,0,0]
	v_pk_fma_f32 v[206:207], v[202:203], s[40:41], v[204:205]
	v_mov_b32_e32 v208, v173
	v_mov_b32_e32 v209, v167
	s_mov_b32 s25, s6
	v_pk_mul_f32 v[210:211], v[60:61], s[6:7]
	v_mov_b32_e32 v33, v207
	v_pk_fma_f32 v[60:61], v[208:209], s[24:25], v[210:211] neg_lo:[1,0,0] neg_hi:[1,0,0]
	v_pk_fma_f32 v[212:213], v[208:209], s[24:25], v[210:211]
	v_pk_add_f32 v[32:33], v[56:57], v[32:33]
	v_mov_b32_e32 v61, v213
	v_pk_add_f32 v[32:33], v[60:61], v[32:33]
	v_mov_b32_e32 v60, v170
	v_mov_b32_e32 v61, v176
	s_mov_b32 s1, s34
	v_mov_b32_e32 v214, v177
	v_mov_b32_e32 v215, v171
	s_mov_b32 s35, s0
	v_pk_mul_f32 v[216:217], v[60:61], s[0:1]
	s_mov_b32 s17, s18
	v_pk_fma_f32 v[60:61], v[214:215], s[34:35], v[216:217] neg_lo:[1,0,0] neg_hi:[1,0,0]
	v_pk_fma_f32 v[218:219], v[214:215], s[34:35], v[216:217]
	v_mov_b32_e32 v220, v179
	v_mov_b32_e32 v61, v219
	v_pk_add_f32 v[32:33], v[60:61], v[32:33]
	v_mov_b32_e32 v60, v174
	v_mov_b32_e32 v61, v178
	;; [unrolled: 1-line block ×3, first 2 shown]
	s_mov_b32 s19, s16
	v_pk_mul_f32 v[222:223], v[60:61], s[16:17]
	s_mov_b32 s21, s22
	v_pk_fma_f32 v[60:61], v[220:221], s[18:19], v[222:223] neg_lo:[1,0,0] neg_hi:[1,0,0]
	v_pk_fma_f32 v[224:225], v[220:221], s[18:19], v[222:223]
	v_mov_b32_e32 v226, v183
	v_mov_b32_e32 v61, v225
	v_pk_add_f32 v[32:33], v[60:61], v[32:33]
	v_mov_b32_e32 v60, v180
	v_mov_b32_e32 v61, v182
	;; [unrolled: 1-line block ×3, first 2 shown]
	s_mov_b32 s23, s20
	v_pk_mul_f32 v[228:229], v[60:61], s[20:21]
	v_pk_fma_f32 v[202:203], v[202:203], s[40:41], v[204:205] neg_lo:[0,0,1] neg_hi:[0,0,1]
	v_pk_fma_f32 v[60:61], v[226:227], s[22:23], v[228:229] neg_lo:[1,0,0] neg_hi:[1,0,0]
	v_pk_fma_f32 v[230:231], v[226:227], s[22:23], v[228:229]
	v_mov_b32_e32 v207, v203
	v_pk_fma_f32 v[204:205], v[208:209], s[24:25], v[210:211] neg_lo:[0,0,1] neg_hi:[0,0,1]
	v_mov_b32_e32 v61, v231
	v_pk_add_f32 v[202:203], v[56:57], v[206:207]
	v_mov_b32_e32 v213, v205
	v_pk_fma_f32 v[204:205], v[214:215], s[34:35], v[216:217] neg_lo:[0,0,1] neg_hi:[0,0,1]
	v_pk_add_f32 v[32:33], v[60:61], v[32:33]
	v_mov_b32_e32 v60, v184
	v_mov_b32_e32 v61, v186
	s_mov_b32 s27, s28
	v_pk_add_f32 v[202:203], v[212:213], v[202:203]
	v_mov_b32_e32 v219, v205
	v_pk_fma_f32 v[204:205], v[220:221], s[18:19], v[222:223] neg_lo:[0,0,1] neg_hi:[0,0,1]
	v_mov_b32_e32 v232, v187
	v_mov_b32_e32 v233, v185
	s_mov_b32 s29, s26
	v_pk_mul_f32 v[234:235], v[60:61], s[26:27]
	v_pk_add_f32 v[202:203], v[218:219], v[202:203]
	v_mov_b32_e32 v225, v205
	v_pk_fma_f32 v[204:205], v[226:227], s[22:23], v[228:229] neg_lo:[0,0,1] neg_hi:[0,0,1]
	v_pk_fma_f32 v[60:61], v[232:233], s[28:29], v[234:235] neg_lo:[1,0,0] neg_hi:[1,0,0]
	v_pk_fma_f32 v[236:237], v[232:233], s[28:29], v[234:235]
	v_pk_add_f32 v[202:203], v[224:225], v[202:203]
	v_mov_b32_e32 v231, v205
	v_pk_fma_f32 v[204:205], v[232:233], s[28:29], v[234:235] neg_lo:[0,0,1] neg_hi:[0,0,1]
	v_mov_b32_e32 v61, v237
	v_pk_add_f32 v[202:203], v[230:231], v[202:203]
	v_mov_b32_e32 v237, v205
	v_pk_add_f32 v[202:203], v[236:237], v[202:203]
	s_barrier
	ds_write2_b64 v190, v[198:199], v[202:203] offset1:1
	v_pk_mul_f32 v[198:199], v[168:169], s[34:35] op_sel_hi:[1,0]
	v_pk_mul_f32 v[206:207], v[172:173], s[28:29] op_sel_hi:[1,0]
	v_pk_fma_f32 v[202:203], v[164:165], s[0:1], v[198:199] op_sel:[0,0,1] op_sel_hi:[1,0,0]
	v_pk_fma_f32 v[198:199], v[164:165], s[0:1], v[198:199] op_sel:[0,0,1] op_sel_hi:[1,0,0] neg_lo:[0,0,1] neg_hi:[0,0,1]
	v_mov_b32_e32 v204, v202
	v_mov_b32_e32 v205, v199
	v_pk_fma_f32 v[208:209], v[166:167], s[26:27], v[206:207] op_sel:[0,0,1] op_sel_hi:[1,0,0]
	v_pk_fma_f32 v[206:207], v[166:167], s[26:27], v[206:207] op_sel:[0,0,1] op_sel_hi:[1,0,0] neg_lo:[0,0,1] neg_hi:[0,0,1]
	v_pk_add_f32 v[204:205], v[56:57], v[204:205]
	v_mov_b32_e32 v210, v208
	v_mov_b32_e32 v211, v207
	s_mov_b32 s46, 0x3f6f5d39
	v_pk_add_f32 v[204:205], v[210:211], v[204:205]
	v_pk_mul_f32 v[210:211], v[176:177], s[46:47] op_sel_hi:[1,0]
	v_pk_mul_f32 v[62:63], v[186:187], s[38:39] op_sel_hi:[1,0]
	v_pk_fma_f32 v[212:213], v[170:171], s[16:17], v[210:211] op_sel:[0,0,1] op_sel_hi:[1,0,0]
	v_pk_fma_f32 v[210:211], v[170:171], s[16:17], v[210:211] op_sel:[0,0,1] op_sel_hi:[1,0,0] neg_lo:[0,0,1] neg_hi:[0,0,1]
	v_mov_b32_e32 v214, v212
	v_mov_b32_e32 v215, v211
	v_pk_add_f32 v[204:205], v[214:215], v[204:205]
	v_pk_mul_f32 v[214:215], v[178:179], s[38:39] op_sel_hi:[1,0]
	v_pk_add_f32 v[32:33], v[60:61], v[32:33]
	v_pk_fma_f32 v[216:217], v[174:175], s[12:13], v[214:215] op_sel:[0,0,1] op_sel_hi:[1,0,0]
	v_pk_fma_f32 v[214:215], v[174:175], s[12:13], v[214:215] op_sel:[0,0,1] op_sel_hi:[1,0,0] neg_lo:[0,0,1] neg_hi:[0,0,1]
	v_mov_b32_e32 v218, v216
	v_mov_b32_e32 v219, v215
	v_pk_add_f32 v[204:205], v[218:219], v[204:205]
	v_pk_mul_f32 v[218:219], v[182:183], s[24:25] op_sel_hi:[1,0]
	v_pk_fma_f32 v[60:61], v[184:185], s[12:13], v[62:63] op_sel:[0,0,1] op_sel_hi:[1,0,0]
	v_pk_fma_f32 v[220:221], v[180:181], s[6:7], v[218:219] op_sel:[0,0,1] op_sel_hi:[1,0,0]
	v_pk_fma_f32 v[218:219], v[180:181], s[6:7], v[218:219] op_sel:[0,0,1] op_sel_hi:[1,0,0] neg_lo:[0,0,1] neg_hi:[0,0,1]
	v_mov_b32_e32 v222, v220
	v_mov_b32_e32 v223, v219
	v_pk_add_f32 v[204:205], v[222:223], v[204:205]
	v_pk_mul_f32 v[222:223], v[186:187], s[22:23] op_sel_hi:[1,0]
	v_pk_fma_f32 v[62:63], v[184:185], s[12:13], v[62:63] op_sel:[0,0,1] op_sel_hi:[1,0,0] neg_lo:[0,0,1] neg_hi:[0,0,1]
	v_pk_fma_f32 v[224:225], v[184:185], s[20:21], v[222:223] op_sel:[0,0,1] op_sel_hi:[1,0,0]
	v_pk_fma_f32 v[222:223], v[184:185], s[20:21], v[222:223] op_sel:[0,0,1] op_sel_hi:[1,0,0] neg_lo:[0,0,1] neg_hi:[0,0,1]
	v_mov_b32_e32 v238, v60
	v_mov_b32_e32 v239, v63
	v_mov_b32_e32 v226, v224
	v_mov_b32_e32 v227, v223
	v_pk_add_f32 v[200:201], v[238:239], v[200:201]
	v_pk_add_f32 v[204:205], v[226:227], v[204:205]
	ds_write2_b64 v190, v[200:201], v[204:205] offset0:2 offset1:3
	v_pk_mul_f32 v[200:201], v[168:169], s[18:19] op_sel_hi:[1,0]
	v_pk_mul_f32 v[228:229], v[172:173], s[36:37] op_sel_hi:[1,0]
	v_pk_fma_f32 v[204:205], v[164:165], s[16:17], v[200:201] op_sel:[0,0,1] op_sel_hi:[1,0,0]
	v_pk_fma_f32 v[200:201], v[164:165], s[16:17], v[200:201] op_sel:[0,0,1] op_sel_hi:[1,0,0] neg_lo:[0,0,1] neg_hi:[0,0,1]
	v_mov_b32_e32 v226, v204
	v_mov_b32_e32 v227, v201
	v_pk_fma_f32 v[230:231], v[166:167], s[20:21], v[228:229] op_sel:[0,0,1] op_sel_hi:[1,0,0]
	v_pk_fma_f32 v[228:229], v[166:167], s[20:21], v[228:229] op_sel:[0,0,1] op_sel_hi:[1,0,0] neg_lo:[0,0,1] neg_hi:[0,0,1]
	v_pk_add_f32 v[226:227], v[56:57], v[226:227]
	v_mov_b32_e32 v232, v230
	v_mov_b32_e32 v233, v229
	v_pk_add_f32 v[226:227], v[232:233], v[226:227]
	v_pk_mul_f32 v[232:233], v[176:177], s[38:39] op_sel_hi:[1,0]
	s_mov_b32 s42, 0x3e750f2a
	v_pk_fma_f32 v[234:235], v[170:171], s[12:13], v[232:233] op_sel:[0,0,1] op_sel_hi:[1,0,0]
	v_pk_fma_f32 v[232:233], v[170:171], s[12:13], v[232:233] op_sel:[0,0,1] op_sel_hi:[1,0,0] neg_lo:[0,0,1] neg_hi:[0,0,1]
	v_mov_b32_e32 v236, v234
	v_mov_b32_e32 v237, v233
	v_pk_add_f32 v[226:227], v[236:237], v[226:227]
	v_pk_mul_f32 v[236:237], v[178:179], s[34:35] op_sel_hi:[1,0]
	s_mov_b32 s40, 0x3f52af12
	v_pk_fma_f32 v[238:239], v[174:175], s[0:1], v[236:237] op_sel:[0,0,1] op_sel_hi:[1,0,0]
	v_pk_fma_f32 v[236:237], v[174:175], s[0:1], v[236:237] op_sel:[0,0,1] op_sel_hi:[1,0,0] neg_lo:[0,0,1] neg_hi:[0,0,1]
	v_mov_b32_e32 v240, v238
	v_mov_b32_e32 v241, v237
	v_pk_add_f32 v[226:227], v[240:241], v[226:227]
	v_pk_mul_f32 v[240:241], v[182:183], s[42:43] op_sel_hi:[1,0]
	v_pk_mul_f32 v[254:255], v[172:173], s[30:31] op_sel_hi:[1,0]
	v_pk_fma_f32 v[242:243], v[180:181], s[26:27], v[240:241] op_sel:[0,0,1] op_sel_hi:[1,0,0]
	v_pk_fma_f32 v[240:241], v[180:181], s[26:27], v[240:241] op_sel:[0,0,1] op_sel_hi:[1,0,0] neg_lo:[0,0,1] neg_hi:[0,0,1]
	v_mov_b32_e32 v244, v242
	v_mov_b32_e32 v245, v241
	v_pk_add_f32 v[226:227], v[244:245], v[226:227]
	v_pk_mul_f32 v[244:245], v[186:187], s[40:41] op_sel_hi:[1,0]
	v_pk_fma_f32 v[192:193], v[166:167], s[0:1], v[254:255] op_sel:[0,0,1] op_sel_hi:[1,0,0]
	v_pk_fma_f32 v[246:247], v[184:185], s[6:7], v[244:245] op_sel:[0,0,1] op_sel_hi:[1,0,0]
	v_pk_fma_f32 v[244:245], v[184:185], s[6:7], v[244:245] op_sel:[0,0,1] op_sel_hi:[1,0,0] neg_lo:[0,0,1] neg_hi:[0,0,1]
	v_mov_b32_e32 v248, v246
	v_mov_b32_e32 v249, v245
	v_pk_add_f32 v[226:227], v[248:249], v[226:227]
	v_pk_mul_f32 v[248:249], v[168:169], s[22:23] op_sel_hi:[1,0]
	v_pk_fma_f32 v[254:255], v[166:167], s[0:1], v[254:255] op_sel:[0,0,1] op_sel_hi:[1,0,0] neg_lo:[0,0,1] neg_hi:[0,0,1]
	v_pk_fma_f32 v[250:251], v[164:165], s[20:21], v[248:249] op_sel:[0,0,1] op_sel_hi:[1,0,0]
	v_pk_fma_f32 v[248:249], v[164:165], s[20:21], v[248:249] op_sel:[0,0,1] op_sel_hi:[1,0,0] neg_lo:[0,0,1] neg_hi:[0,0,1]
	v_mov_b32_e32 v252, v250
	v_mov_b32_e32 v253, v249
	v_pk_add_f32 v[252:253], v[56:57], v[252:253]
	v_mov_b32_e32 v196, v192
	v_mov_b32_e32 v197, v255
	v_pk_add_f32 v[196:197], v[196:197], v[252:253]
	v_pk_mul_f32 v[252:253], v[176:177], s[24:25] op_sel_hi:[1,0]
	v_accvgpr_write_b32 a17, v35
	v_pk_fma_f32 v[188:189], v[170:171], s[6:7], v[252:253] op_sel:[0,0,1] op_sel_hi:[1,0,0]
	v_pk_fma_f32 v[252:253], v[170:171], s[6:7], v[252:253] op_sel:[0,0,1] op_sel_hi:[1,0,0] neg_lo:[0,0,1] neg_hi:[0,0,1]
	v_mov_b32_e32 v194, v188
	v_mov_b32_e32 v195, v253
	v_pk_add_f32 v[194:195], v[194:195], v[196:197]
	v_pk_mul_f32 v[196:197], v[178:179], s[42:43] op_sel_hi:[1,0]
	v_mov_b32_e32 v249, v251
	v_pk_fma_f32 v[40:41], v[174:175], s[26:27], v[196:197] op_sel:[0,0,1] op_sel_hi:[1,0,0]
	v_pk_fma_f32 v[196:197], v[174:175], s[26:27], v[196:197] op_sel:[0,0,1] op_sel_hi:[1,0,0] neg_lo:[0,0,1] neg_hi:[0,0,1]
	v_mov_b32_e32 v34, v40
	v_mov_b32_e32 v35, v197
	v_pk_add_f32 v[34:35], v[34:35], v[194:195]
	v_pk_mul_f32 v[194:195], v[182:183], s[38:39] op_sel_hi:[1,0]
	v_mov_b32_e32 v201, v205
	v_pk_fma_f32 v[48:49], v[180:181], s[12:13], v[194:195] op_sel:[0,0,1] op_sel_hi:[1,0,0]
	v_pk_fma_f32 v[194:195], v[180:181], s[12:13], v[194:195] op_sel:[0,0,1] op_sel_hi:[1,0,0] neg_lo:[0,0,1] neg_hi:[0,0,1]
	v_mov_b32_e32 v44, v48
	v_mov_b32_e32 v45, v195
	v_pk_add_f32 v[34:35], v[44:45], v[34:35]
	v_pk_mul_f32 v[44:45], v[186:187], s[18:19] op_sel_hi:[1,0]
	v_mov_b32_e32 v255, v193
	v_pk_fma_f32 v[134:135], v[184:185], s[16:17], v[44:45] op_sel:[0,0,1] op_sel_hi:[1,0,0]
	v_pk_fma_f32 v[44:45], v[184:185], s[16:17], v[44:45] op_sel:[0,0,1] op_sel_hi:[1,0,0] neg_lo:[0,0,1] neg_hi:[0,0,1]
	v_mov_b32_e32 v52, v134
	v_mov_b32_e32 v53, v45
	v_pk_add_f32 v[34:35], v[52:53], v[34:35]
	ds_write2_b64 v190, v[226:227], v[34:35] offset0:4 offset1:5
	v_pk_mul_f32 v[34:35], v[168:169], s[28:29] op_sel_hi:[1,0]
	v_pk_mul_f32 v[168:169], v[172:173], s[38:39] op_sel_hi:[1,0]
	v_pk_fma_f32 v[52:53], v[164:165], s[26:27], v[34:35] op_sel:[0,0,1] op_sel_hi:[1,0,0]
	v_pk_fma_f32 v[34:35], v[164:165], s[26:27], v[34:35] op_sel:[0,0,1] op_sel_hi:[1,0,0] neg_lo:[0,0,1] neg_hi:[0,0,1]
	v_mov_b32_e32 v164, v52
	v_mov_b32_e32 v165, v35
	v_pk_fma_f32 v[172:173], v[166:167], s[12:13], v[168:169] op_sel:[0,0,1] op_sel_hi:[1,0,0]
	v_pk_fma_f32 v[166:167], v[166:167], s[12:13], v[168:169] op_sel:[0,0,1] op_sel_hi:[1,0,0] neg_lo:[0,0,1] neg_hi:[0,0,1]
	v_pk_add_f32 v[164:165], v[56:57], v[164:165]
	v_mov_b32_e32 v168, v172
	v_mov_b32_e32 v169, v167
	v_pk_add_f32 v[164:165], v[168:169], v[164:165]
	v_pk_mul_f32 v[168:169], v[176:177], s[22:23] op_sel_hi:[1,0]
	v_mov_b32_e32 v35, v53
	v_pk_fma_f32 v[176:177], v[170:171], s[20:21], v[168:169] op_sel:[0,0,1] op_sel_hi:[1,0,0]
	v_pk_fma_f32 v[168:169], v[170:171], s[20:21], v[168:169] op_sel:[0,0,1] op_sel_hi:[1,0,0] neg_lo:[0,0,1] neg_hi:[0,0,1]
	v_mov_b32_e32 v170, v176
	v_mov_b32_e32 v171, v169
	v_pk_add_f32 v[164:165], v[170:171], v[164:165]
	v_pk_mul_f32 v[170:171], v[178:179], s[40:41] op_sel_hi:[1,0]
	v_pk_add_f32 v[34:35], v[56:57], v[34:35]
	v_pk_fma_f32 v[178:179], v[174:175], s[6:7], v[170:171] op_sel:[0,0,1] op_sel_hi:[1,0,0]
	v_pk_fma_f32 v[170:171], v[174:175], s[6:7], v[170:171] op_sel:[0,0,1] op_sel_hi:[1,0,0] neg_lo:[0,0,1] neg_hi:[0,0,1]
	v_mov_b32_e32 v174, v178
	v_mov_b32_e32 v175, v171
	v_pk_add_f32 v[164:165], v[174:175], v[164:165]
	v_pk_mul_f32 v[174:175], v[182:183], s[18:19] op_sel_hi:[1,0]
	v_mov_b32_e32 v167, v173
	v_pk_fma_f32 v[182:183], v[180:181], s[16:17], v[174:175] op_sel:[0,0,1] op_sel_hi:[1,0,0]
	v_pk_fma_f32 v[174:175], v[180:181], s[16:17], v[174:175] op_sel:[0,0,1] op_sel_hi:[1,0,0] neg_lo:[0,0,1] neg_hi:[0,0,1]
	v_mov_b32_e32 v180, v182
	v_mov_b32_e32 v181, v175
	v_pk_add_f32 v[34:35], v[166:167], v[34:35]
	v_mov_b32_e32 v169, v177
	v_pk_add_f32 v[164:165], v[180:181], v[164:165]
	v_pk_mul_f32 v[180:181], v[186:187], s[30:31] op_sel_hi:[1,0]
	v_pk_add_f32 v[34:35], v[168:169], v[34:35]
	v_mov_b32_e32 v171, v179
	v_pk_fma_f32 v[186:187], v[184:185], s[0:1], v[180:181] op_sel:[0,0,1] op_sel_hi:[1,0,0]
	v_pk_fma_f32 v[180:181], v[184:185], s[0:1], v[180:181] op_sel:[0,0,1] op_sel_hi:[1,0,0] neg_lo:[0,0,1] neg_hi:[0,0,1]
	v_pk_add_f32 v[34:35], v[170:171], v[34:35]
	v_mov_b32_e32 v175, v183
	v_mov_b32_e32 v184, v186
	;; [unrolled: 1-line block ×3, first 2 shown]
	v_pk_add_f32 v[34:35], v[174:175], v[34:35]
	v_mov_b32_e32 v181, v187
	v_pk_add_f32 v[164:165], v[184:185], v[164:165]
	v_pk_add_f32 v[34:35], v[180:181], v[34:35]
	ds_write2_b64 v190, v[164:165], v[34:35] offset0:6 offset1:7
	v_pk_add_f32 v[34:35], v[56:57], v[248:249]
	v_mov_b32_e32 v197, v41
	v_pk_add_f32 v[40:41], v[56:57], v[200:201]
	v_mov_b32_e32 v229, v231
	;; [unrolled: 2-line block ×4, first 2 shown]
	v_pk_add_f32 v[34:35], v[252:253], v[34:35]
	v_pk_add_f32 v[40:41], v[232:233], v[40:41]
	v_mov_b32_e32 v237, v239
	v_pk_add_f32 v[34:35], v[196:197], v[34:35]
	v_mov_b32_e32 v195, v49
	;; [unrolled: 2-line block ×5, first 2 shown]
	v_pk_add_f32 v[34:35], v[44:45], v[34:35]
	v_pk_add_f32 v[40:41], v[244:245], v[40:41]
	v_mov_b32_e32 v199, v203
	v_mov_b32_e32 v163, v59
	ds_write2_b64 v190, v[34:35], v[40:41] offset0:8 offset1:9
	v_pk_add_f32 v[34:35], v[56:57], v[198:199]
	v_mov_b32_e32 v207, v209
	v_pk_add_f32 v[40:41], v[56:57], v[162:163]
	v_mov_b32_e32 v79, v73
	;; [unrolled: 2-line block ×10, first 2 shown]
	v_pk_add_f32 v[34:35], v[222:223], v[34:35]
	v_pk_add_f32 v[40:41], v[62:63], v[40:41]
	ds_write2_b64 v190, v[34:35], v[40:41] offset0:10 offset1:11
	ds_write_b64 v190, v[32:33] offset:96
	s_and_saveexec_b64 s[44:45], s[4:5]
	s_cbranch_execz .LBB0_17
; %bb.16:
	v_pk_mul_f32 v[34:35], v[160:161], s[24:25] op_sel_hi:[1,0]
	v_pk_mul_f32 v[40:41], v[156:157], s[18:19] op_sel_hi:[1,0]
	v_pk_fma_f32 v[56:57], v[158:159], s[6:7], v[34:35] op_sel:[0,0,1] op_sel_hi:[1,0,0]
	v_pk_fma_f32 v[58:59], v[158:159], s[6:7], v[34:35] op_sel:[0,0,1] op_sel_hi:[1,0,0] neg_lo:[0,0,1] neg_hi:[0,0,1]
	v_mov_b32_e32 v34, v56
	v_mov_b32_e32 v35, v59
	v_pk_fma_f32 v[60:61], v[154:155], s[16:17], v[40:41] op_sel:[0,0,1] op_sel_hi:[1,0,0]
	v_pk_fma_f32 v[62:63], v[154:155], s[16:17], v[40:41] op_sel:[0,0,1] op_sel_hi:[1,0,0] neg_lo:[0,0,1] neg_hi:[0,0,1]
	v_pk_add_f32 v[34:35], v[36:37], v[34:35]
	v_mov_b32_e32 v40, v60
	v_mov_b32_e32 v41, v63
	v_pk_add_f32 v[34:35], v[40:41], v[34:35]
	v_pk_mul_f32 v[40:41], v[152:153], s[28:29] op_sel_hi:[1,0]
	v_pk_mul_f32 v[52:53], v[156:157], s[28:29] op_sel_hi:[1,0]
	v_pk_fma_f32 v[64:65], v[150:151], s[26:27], v[40:41] op_sel:[0,0,1] op_sel_hi:[1,0,0]
	v_pk_fma_f32 v[66:67], v[150:151], s[26:27], v[40:41] op_sel:[0,0,1] op_sel_hi:[1,0,0] neg_lo:[0,0,1] neg_hi:[0,0,1]
	v_mov_b32_e32 v40, v64
	v_mov_b32_e32 v41, v67
	v_pk_add_f32 v[34:35], v[40:41], v[34:35]
	v_pk_mul_f32 v[40:41], v[148:149], s[36:37] op_sel_hi:[1,0]
	v_pk_fma_f32 v[134:135], v[154:155], s[26:27], v[52:53] op_sel:[0,0,1] op_sel_hi:[1,0,0]
	v_pk_fma_f32 v[68:69], v[146:147], s[20:21], v[40:41] op_sel:[0,0,1] op_sel_hi:[1,0,0]
	v_pk_fma_f32 v[70:71], v[146:147], s[20:21], v[40:41] op_sel:[0,0,1] op_sel_hi:[1,0,0] neg_lo:[0,0,1] neg_hi:[0,0,1]
	v_mov_b32_e32 v40, v68
	v_mov_b32_e32 v41, v71
	v_pk_add_f32 v[34:35], v[40:41], v[34:35]
	v_pk_mul_f32 v[40:41], v[144:145], s[30:31] op_sel_hi:[1,0]
	v_pk_fma_f32 v[52:53], v[154:155], s[26:27], v[52:53] op_sel:[0,0,1] op_sel_hi:[1,0,0] neg_lo:[0,0,1] neg_hi:[0,0,1]
	v_pk_fma_f32 v[72:73], v[142:143], s[0:1], v[40:41] op_sel:[0,0,1] op_sel_hi:[1,0,0]
	v_pk_fma_f32 v[74:75], v[142:143], s[0:1], v[40:41] op_sel:[0,0,1] op_sel_hi:[1,0,0] neg_lo:[0,0,1] neg_hi:[0,0,1]
	v_mov_b32_e32 v40, v72
	v_mov_b32_e32 v41, v75
	v_pk_add_f32 v[34:35], v[40:41], v[34:35]
	v_pk_mul_f32 v[40:41], v[140:141], s[38:39] op_sel_hi:[1,0]
	v_mov_b32_e32 v162, v134
	v_pk_fma_f32 v[76:77], v[138:139], s[12:13], v[40:41] op_sel:[0,0,1] op_sel_hi:[1,0,0]
	v_pk_fma_f32 v[78:79], v[138:139], s[12:13], v[40:41] op_sel:[0,0,1] op_sel_hi:[1,0,0] neg_lo:[0,0,1] neg_hi:[0,0,1]
	v_mov_b32_e32 v40, v76
	v_mov_b32_e32 v41, v79
	v_pk_add_f32 v[34:35], v[40:41], v[34:35]
	v_pk_mul_f32 v[40:41], v[160:161], s[34:35] op_sel_hi:[1,0]
	v_mov_b32_e32 v163, v53
	v_pk_fma_f32 v[44:45], v[158:159], s[0:1], v[40:41] op_sel:[0,0,1] op_sel_hi:[1,0,0]
	v_pk_fma_f32 v[40:41], v[158:159], s[0:1], v[40:41] op_sel:[0,0,1] op_sel_hi:[1,0,0] neg_lo:[0,0,1] neg_hi:[0,0,1]
	v_mov_b32_e32 v48, v44
	v_mov_b32_e32 v49, v41
	v_pk_add_f32 v[48:49], v[36:37], v[48:49]
	v_accvgpr_read_b32 v4, a6
	v_pk_add_f32 v[48:49], v[162:163], v[48:49]
	v_pk_mul_f32 v[162:163], v[152:153], s[46:47] op_sel_hi:[1,0]
	v_lshl_add_u32 v4, v4, 3, v191
	v_pk_fma_f32 v[164:165], v[150:151], s[16:17], v[162:163] op_sel:[0,0,1] op_sel_hi:[1,0,0]
	v_pk_fma_f32 v[162:163], v[150:151], s[16:17], v[162:163] op_sel:[0,0,1] op_sel_hi:[1,0,0] neg_lo:[0,0,1] neg_hi:[0,0,1]
	v_mov_b32_e32 v166, v164
	v_mov_b32_e32 v167, v163
	v_pk_add_f32 v[48:49], v[166:167], v[48:49]
	v_pk_mul_f32 v[166:167], v[148:149], s[38:39] op_sel_hi:[1,0]
	v_pk_mul_f32 v[180:181], v[156:157], s[36:37] op_sel_hi:[1,0]
	v_pk_fma_f32 v[168:169], v[146:147], s[12:13], v[166:167] op_sel:[0,0,1] op_sel_hi:[1,0,0]
	v_pk_fma_f32 v[166:167], v[146:147], s[12:13], v[166:167] op_sel:[0,0,1] op_sel_hi:[1,0,0] neg_lo:[0,0,1] neg_hi:[0,0,1]
	v_mov_b32_e32 v170, v168
	v_mov_b32_e32 v171, v167
	v_pk_add_f32 v[48:49], v[170:171], v[48:49]
	v_pk_mul_f32 v[170:171], v[144:145], s[24:25] op_sel_hi:[1,0]
	v_pk_fma_f32 v[182:183], v[154:155], s[20:21], v[180:181] op_sel:[0,0,1] op_sel_hi:[1,0,0]
	v_pk_fma_f32 v[172:173], v[142:143], s[6:7], v[170:171] op_sel:[0,0,1] op_sel_hi:[1,0,0]
	v_pk_fma_f32 v[170:171], v[142:143], s[6:7], v[170:171] op_sel:[0,0,1] op_sel_hi:[1,0,0] neg_lo:[0,0,1] neg_hi:[0,0,1]
	v_mov_b32_e32 v174, v172
	v_mov_b32_e32 v175, v171
	v_pk_add_f32 v[48:49], v[174:175], v[48:49]
	v_pk_mul_f32 v[174:175], v[140:141], s[22:23] op_sel_hi:[1,0]
	v_pk_fma_f32 v[180:181], v[154:155], s[20:21], v[180:181] op_sel:[0,0,1] op_sel_hi:[1,0,0] neg_lo:[0,0,1] neg_hi:[0,0,1]
	v_pk_fma_f32 v[176:177], v[138:139], s[20:21], v[174:175] op_sel:[0,0,1] op_sel_hi:[1,0,0]
	v_pk_fma_f32 v[174:175], v[138:139], s[20:21], v[174:175] op_sel:[0,0,1] op_sel_hi:[1,0,0] neg_lo:[0,0,1] neg_hi:[0,0,1]
	v_mov_b32_e32 v178, v176
	v_mov_b32_e32 v179, v175
	v_pk_add_f32 v[48:49], v[178:179], v[48:49]
	ds_write2_b64 v4, v[34:35], v[48:49] offset0:2 offset1:3
	v_pk_mul_f32 v[34:35], v[160:161], s[18:19] op_sel_hi:[1,0]
	v_mov_b32_e32 v184, v182
	v_pk_fma_f32 v[48:49], v[158:159], s[16:17], v[34:35] op_sel:[0,0,1] op_sel_hi:[1,0,0]
	v_pk_fma_f32 v[34:35], v[158:159], s[16:17], v[34:35] op_sel:[0,0,1] op_sel_hi:[1,0,0] neg_lo:[0,0,1] neg_hi:[0,0,1]
	v_mov_b32_e32 v178, v48
	v_mov_b32_e32 v179, v35
	v_pk_add_f32 v[178:179], v[36:37], v[178:179]
	v_mov_b32_e32 v185, v181
	v_pk_add_f32 v[178:179], v[184:185], v[178:179]
	v_pk_mul_f32 v[184:185], v[152:153], s[38:39] op_sel_hi:[1,0]
	v_pk_mul_f32 v[208:209], v[156:157], s[30:31] op_sel_hi:[1,0]
	v_pk_fma_f32 v[186:187], v[150:151], s[12:13], v[184:185] op_sel:[0,0,1] op_sel_hi:[1,0,0]
	v_pk_fma_f32 v[184:185], v[150:151], s[12:13], v[184:185] op_sel:[0,0,1] op_sel_hi:[1,0,0] neg_lo:[0,0,1] neg_hi:[0,0,1]
	v_mov_b32_e32 v188, v186
	v_mov_b32_e32 v189, v185
	v_pk_add_f32 v[178:179], v[188:189], v[178:179]
	v_pk_mul_f32 v[188:189], v[148:149], s[34:35] op_sel_hi:[1,0]
	v_pk_fma_f32 v[210:211], v[154:155], s[0:1], v[208:209] op_sel:[0,0,1] op_sel_hi:[1,0,0]
	v_pk_fma_f32 v[192:193], v[146:147], s[0:1], v[188:189] op_sel:[0,0,1] op_sel_hi:[1,0,0]
	v_pk_fma_f32 v[188:189], v[146:147], s[0:1], v[188:189] op_sel:[0,0,1] op_sel_hi:[1,0,0] neg_lo:[0,0,1] neg_hi:[0,0,1]
	v_mov_b32_e32 v194, v192
	v_mov_b32_e32 v195, v189
	v_pk_add_f32 v[178:179], v[194:195], v[178:179]
	v_pk_mul_f32 v[194:195], v[144:145], s[42:43] op_sel_hi:[1,0]
	v_pk_fma_f32 v[208:209], v[154:155], s[0:1], v[208:209] op_sel:[0,0,1] op_sel_hi:[1,0,0] neg_lo:[0,0,1] neg_hi:[0,0,1]
	v_pk_fma_f32 v[196:197], v[142:143], s[26:27], v[194:195] op_sel:[0,0,1] op_sel_hi:[1,0,0]
	v_pk_fma_f32 v[194:195], v[142:143], s[26:27], v[194:195] op_sel:[0,0,1] op_sel_hi:[1,0,0] neg_lo:[0,0,1] neg_hi:[0,0,1]
	v_mov_b32_e32 v198, v196
	v_mov_b32_e32 v199, v195
	v_pk_add_f32 v[178:179], v[198:199], v[178:179]
	v_pk_mul_f32 v[198:199], v[140:141], s[40:41] op_sel_hi:[1,0]
	v_mov_b32_e32 v212, v210
	v_pk_fma_f32 v[200:201], v[138:139], s[6:7], v[198:199] op_sel:[0,0,1] op_sel_hi:[1,0,0]
	v_pk_fma_f32 v[198:199], v[138:139], s[6:7], v[198:199] op_sel:[0,0,1] op_sel_hi:[1,0,0] neg_lo:[0,0,1] neg_hi:[0,0,1]
	v_mov_b32_e32 v202, v200
	v_mov_b32_e32 v203, v199
	v_pk_add_f32 v[178:179], v[202:203], v[178:179]
	v_pk_mul_f32 v[202:203], v[160:161], s[22:23] op_sel_hi:[1,0]
	v_mov_b32_e32 v213, v209
	v_pk_fma_f32 v[204:205], v[158:159], s[20:21], v[202:203] op_sel:[0,0,1] op_sel_hi:[1,0,0]
	v_pk_fma_f32 v[202:203], v[158:159], s[20:21], v[202:203] op_sel:[0,0,1] op_sel_hi:[1,0,0] neg_lo:[0,0,1] neg_hi:[0,0,1]
	v_mov_b32_e32 v206, v204
	v_mov_b32_e32 v207, v203
	v_pk_add_f32 v[206:207], v[36:37], v[206:207]
	v_pk_mul_f32 v[160:161], v[160:161], s[28:29] op_sel_hi:[1,0]
	v_pk_add_f32 v[206:207], v[212:213], v[206:207]
	v_pk_mul_f32 v[212:213], v[152:153], s[24:25] op_sel_hi:[1,0]
	v_pk_mul_f32 v[156:157], v[156:157], s[38:39] op_sel_hi:[1,0]
	v_pk_fma_f32 v[214:215], v[150:151], s[6:7], v[212:213] op_sel:[0,0,1] op_sel_hi:[1,0,0]
	v_pk_fma_f32 v[212:213], v[150:151], s[6:7], v[212:213] op_sel:[0,0,1] op_sel_hi:[1,0,0] neg_lo:[0,0,1] neg_hi:[0,0,1]
	v_mov_b32_e32 v216, v214
	v_mov_b32_e32 v217, v213
	v_pk_add_f32 v[206:207], v[216:217], v[206:207]
	v_pk_mul_f32 v[216:217], v[148:149], s[42:43] op_sel_hi:[1,0]
	v_pk_mul_f32 v[152:153], v[152:153], s[22:23] op_sel_hi:[1,0]
	v_pk_fma_f32 v[218:219], v[146:147], s[26:27], v[216:217] op_sel:[0,0,1] op_sel_hi:[1,0,0]
	v_pk_fma_f32 v[216:217], v[146:147], s[26:27], v[216:217] op_sel:[0,0,1] op_sel_hi:[1,0,0] neg_lo:[0,0,1] neg_hi:[0,0,1]
	v_mov_b32_e32 v220, v218
	v_mov_b32_e32 v221, v217
	;; [unrolled: 7-line block ×4, first 2 shown]
	v_pk_add_f32 v[206:207], v[228:229], v[206:207]
	ds_write2_b64 v4, v[178:179], v[206:207] offset0:4 offset1:5
	v_pk_fma_f32 v[178:179], v[158:159], s[26:27], v[160:161] op_sel:[0,0,1] op_sel_hi:[1,0,0]
	v_pk_fma_f32 v[158:159], v[158:159], s[26:27], v[160:161] op_sel:[0,0,1] op_sel_hi:[1,0,0] neg_lo:[0,0,1] neg_hi:[0,0,1]
	v_mov_b32_e32 v160, v178
	v_mov_b32_e32 v161, v159
	v_pk_fma_f32 v[206:207], v[154:155], s[12:13], v[156:157] op_sel:[0,0,1] op_sel_hi:[1,0,0]
	v_pk_fma_f32 v[154:155], v[154:155], s[12:13], v[156:157] op_sel:[0,0,1] op_sel_hi:[1,0,0] neg_lo:[0,0,1] neg_hi:[0,0,1]
	v_pk_add_f32 v[160:161], v[36:37], v[160:161]
	v_mov_b32_e32 v156, v206
	v_mov_b32_e32 v157, v155
	v_pk_add_f32 v[156:157], v[156:157], v[160:161]
	v_pk_fma_f32 v[160:161], v[150:151], s[20:21], v[152:153] op_sel:[0,0,1] op_sel_hi:[1,0,0]
	v_pk_fma_f32 v[150:151], v[150:151], s[20:21], v[152:153] op_sel:[0,0,1] op_sel_hi:[1,0,0] neg_lo:[0,0,1] neg_hi:[0,0,1]
	v_mov_b32_e32 v152, v160
	v_mov_b32_e32 v153, v151
	v_pk_add_f32 v[152:153], v[152:153], v[156:157]
	v_pk_fma_f32 v[156:157], v[146:147], s[6:7], v[148:149] op_sel:[0,0,1] op_sel_hi:[1,0,0]
	v_pk_fma_f32 v[146:147], v[146:147], s[6:7], v[148:149] op_sel:[0,0,1] op_sel_hi:[1,0,0] neg_lo:[0,0,1] neg_hi:[0,0,1]
	;; [unrolled: 5-line block ×3, first 2 shown]
	v_mov_b32_e32 v144, v152
	v_mov_b32_e32 v145, v143
	v_pk_mul_f32 v[140:141], v[140:141], s[30:31] op_sel_hi:[1,0]
	v_pk_add_f32 v[144:145], v[144:145], v[148:149]
	v_pk_fma_f32 v[148:149], v[138:139], s[0:1], v[140:141] op_sel:[0,0,1] op_sel_hi:[1,0,0]
	v_pk_fma_f32 v[138:139], v[138:139], s[0:1], v[140:141] op_sel:[0,0,1] op_sel_hi:[1,0,0] neg_lo:[0,0,1] neg_hi:[0,0,1]
	v_mov_b32_e32 v140, v148
	v_mov_b32_e32 v141, v139
	v_mov_b32_e32 v159, v179
	v_pk_add_f32 v[140:141], v[140:141], v[144:145]
	v_pk_add_f32 v[144:145], v[36:37], v[158:159]
	v_mov_b32_e32 v155, v207
	v_pk_add_f32 v[144:145], v[154:155], v[144:145]
	v_mov_b32_e32 v151, v161
	;; [unrolled: 2-line block ×6, first 2 shown]
	v_mov_b32_e32 v35, v49
	ds_write2_b64 v4, v[140:141], v[138:139] offset0:6 offset1:7
	v_pk_add_f32 v[138:139], v[36:37], v[202:203]
	v_mov_b32_e32 v209, v211
	v_pk_add_f32 v[34:35], v[36:37], v[34:35]
	v_mov_b32_e32 v181, v183
	;; [unrolled: 2-line block ×10, first 2 shown]
	v_pk_add_f32 v[138:139], v[224:225], v[138:139]
	v_pk_add_f32 v[34:35], v[198:199], v[34:35]
	v_mov_b32_e32 v41, v45
	v_mov_b32_e32 v59, v57
	ds_write2_b64 v4, v[138:139], v[34:35] offset0:8 offset1:9
	v_pk_add_f32 v[34:35], v[36:37], v[40:41]
	v_mov_b32_e32 v53, v135
	v_pk_add_f32 v[40:41], v[36:37], v[58:59]
	v_mov_b32_e32 v63, v61
	;; [unrolled: 2-line block ×10, first 2 shown]
	v_pk_add_f32 v[34:35], v[174:175], v[34:35]
	v_pk_add_f32 v[40:41], v[78:79], v[40:41]
	v_accvgpr_read_b32 v39, a7
	ds_write2_b64 v4, v[34:35], v[40:41] offset0:10 offset1:11
	v_pk_add_f32 v[34:35], v[36:37], v[38:39]
	v_accvgpr_read_b32 v43, a9
	v_pk_add_f32 v[34:35], v[42:43], v[34:35]
	v_accvgpr_read_b32 v47, a11
	;; [unrolled: 2-line block ×5, first 2 shown]
	v_pk_add_f32 v[34:35], v[136:137], v[34:35]
	ds_write2_b64 v4, v[132:133], v[130:131] offset1:1
	ds_write_b64 v4, v[34:35] offset:96
.LBB0_17:
	s_or_b64 exec, exec, s[44:45]
	v_mov_b32_e32 v72, v28
	v_mov_b32_e32 v73, v28
	v_add_u32_e32 v28, 0x800, v101
	s_waitcnt lgkmcnt(0)
	s_barrier
	ds_read2_b64 v[48:51], v101 offset1:39
	ds_read2_b64 v[56:59], v101 offset0:182 offset1:221
	ds_read2_b64 v[52:55], v28 offset0:108 offset1:147
	;; [unrolled: 1-line block ×5, first 2 shown]
	v_mov_b32_e32 v4, v115
	v_mov_b32_e32 v140, v16
	;; [unrolled: 1-line block ×23, first 2 shown]
	s_and_saveexec_b64 s[0:1], s[2:3]
	s_cbranch_execz .LBB0_19
; %bb.18:
	v_add_u32_e32 v32, 0x400, v101
	ds_read2_b64 v[32:35], v32 offset0:28 offset1:210
	ds_read_b64 v[130:131], v101 offset:4160
	s_waitcnt lgkmcnt(1)
	v_mov_b64_e32 v[132:133], v[34:35]
.LBB0_19:
	s_or_b64 exec, exec, s[0:1]
	s_waitcnt lgkmcnt(4)
	v_pk_mul_f32 v[16:17], v[16:17], v[56:57]
	s_waitcnt lgkmcnt(3)
	v_pk_mul_f32 v[18:19], v[18:19], v[52:53]
	v_pk_fma_f32 v[144:145], v[140:141], v[56:57], v[16:17] op_sel:[0,0,1] op_sel_hi:[1,1,0]
	v_pk_fma_f32 v[16:17], v[140:141], v[56:57], v[16:17] op_sel:[0,0,1] op_sel_hi:[1,1,0] neg_lo:[0,0,1] neg_hi:[0,0,1]
	s_mov_b32 s0, 0x3f5db3d7
	v_mov_b32_e32 v145, v17
	v_pk_fma_f32 v[16:17], v[138:139], v[52:53], v[18:19] op_sel:[0,0,1] op_sel_hi:[1,1,0]
	v_pk_fma_f32 v[18:19], v[138:139], v[52:53], v[18:19] op_sel:[0,0,1] op_sel_hi:[1,1,0] neg_lo:[0,0,1] neg_hi:[0,0,1]
	v_pk_mul_f32 v[20:21], v[20:21], v[58:59]
	v_mov_b32_e32 v17, v19
	v_pk_add_f32 v[18:19], v[48:49], v[144:145]
	v_pk_add_f32 v[52:53], v[144:145], v[16:17]
	;; [unrolled: 1-line block ×3, first 2 shown]
	v_pk_add_f32 v[16:17], v[144:145], v[16:17] neg_lo:[0,1] neg_hi:[0,1]
	v_pk_fma_f32 v[48:49], v[52:53], 0.5, v[48:49] op_sel_hi:[1,0,1] neg_lo:[1,0,0] neg_hi:[1,0,0]
	v_pk_mul_f32 v[16:17], v[16:17], s[0:1] op_sel_hi:[1,0]
	v_pk_mul_f32 v[22:23], v[22:23], v[54:55]
	v_pk_add_f32 v[52:53], v[48:49], v[16:17] op_sel:[0,1] op_sel_hi:[1,0] neg_lo:[0,1] neg_hi:[0,1]
	v_pk_add_f32 v[16:17], v[48:49], v[16:17] op_sel:[0,1] op_sel_hi:[1,0]
	v_mov_b32_e32 v48, v52
	v_mov_b32_e32 v49, v17
	v_accvgpr_read_b32 v52, a2
	v_mov_b32_e32 v17, v53
	s_waitcnt lgkmcnt(0)
	s_barrier
	ds_write2_b64 v52, v[18:19], v[48:49] offset1:13
	ds_write_b64 v52, v[16:17] offset:208
	v_pk_fma_f32 v[16:17], v[136:137], v[58:59], v[20:21] op_sel:[0,0,1] op_sel_hi:[1,1,0]
	v_pk_fma_f32 v[18:19], v[136:137], v[58:59], v[20:21] op_sel:[0,0,1] op_sel_hi:[1,1,0] neg_lo:[0,0,1] neg_hi:[0,0,1]
	v_pk_fma_f32 v[20:21], v[134:135], v[54:55], v[22:23] op_sel:[0,0,1] op_sel_hi:[1,1,0] neg_lo:[0,0,1] neg_hi:[0,0,1]
	v_mov_b32_e32 v17, v19
	v_pk_fma_f32 v[18:19], v[134:135], v[54:55], v[22:23] op_sel:[0,0,1] op_sel_hi:[1,1,0]
	v_pk_mul_f32 v[24:25], v[24:25], v[44:45]
	v_mov_b32_e32 v19, v21
	v_pk_add_f32 v[20:21], v[50:51], v[16:17]
	v_pk_add_f32 v[22:23], v[16:17], v[18:19]
	v_pk_add_f32 v[16:17], v[16:17], v[18:19] neg_lo:[0,1] neg_hi:[0,1]
	v_pk_fma_f32 v[22:23], v[22:23], 0.5, v[50:51] op_sel_hi:[1,0,1] neg_lo:[1,0,0] neg_hi:[1,0,0]
	v_pk_mul_f32 v[16:17], v[16:17], s[0:1] op_sel_hi:[1,0]
	v_pk_add_f32 v[20:21], v[20:21], v[18:19]
	v_pk_add_f32 v[18:19], v[22:23], v[16:17] op_sel:[0,1] op_sel_hi:[1,0] neg_lo:[0,1] neg_hi:[0,1]
	v_pk_add_f32 v[16:17], v[22:23], v[16:17] op_sel:[0,1] op_sel_hi:[1,0]
	v_mov_b32_e32 v22, v18
	v_mov_b32_e32 v23, v17
	v_accvgpr_read_b32 v18, a1
	v_mov_b32_e32 v17, v19
	v_pk_mul_f32 v[26:27], v[26:27], v[40:41]
	ds_write2_b64 v18, v[20:21], v[22:23] offset1:13
	ds_write_b64 v18, v[16:17] offset:208
	v_pk_fma_f32 v[16:17], v[76:77], v[44:45], v[24:25] op_sel:[0,0,1] op_sel_hi:[1,1,0]
	v_pk_fma_f32 v[18:19], v[76:77], v[44:45], v[24:25] op_sel:[0,0,1] op_sel_hi:[1,1,0] neg_lo:[0,0,1] neg_hi:[0,0,1]
	v_pk_fma_f32 v[20:21], v[74:75], v[40:41], v[26:27] op_sel:[0,0,1] op_sel_hi:[1,1,0] neg_lo:[0,0,1] neg_hi:[0,0,1]
	v_mov_b32_e32 v17, v19
	v_pk_fma_f32 v[18:19], v[74:75], v[40:41], v[26:27] op_sel:[0,0,1] op_sel_hi:[1,1,0]
	v_pk_mul_f32 v[28:29], v[28:29], v[46:47]
	v_mov_b32_e32 v19, v21
	v_pk_add_f32 v[20:21], v[36:37], v[16:17]
	v_pk_add_f32 v[22:23], v[16:17], v[18:19]
	v_pk_add_f32 v[16:17], v[16:17], v[18:19] neg_lo:[0,1] neg_hi:[0,1]
	v_pk_fma_f32 v[22:23], v[22:23], 0.5, v[36:37] op_sel_hi:[1,0,1] neg_lo:[1,0,0] neg_hi:[1,0,0]
	v_pk_mul_f32 v[16:17], v[16:17], s[0:1] op_sel_hi:[1,0]
	v_pk_add_f32 v[20:21], v[20:21], v[18:19]
	v_pk_add_f32 v[18:19], v[22:23], v[16:17] op_sel:[0,1] op_sel_hi:[1,0] neg_lo:[0,1] neg_hi:[0,1]
	v_pk_add_f32 v[16:17], v[22:23], v[16:17] op_sel:[0,1] op_sel_hi:[1,0]
	v_mov_b32_e32 v22, v18
	v_mov_b32_e32 v23, v17
	v_accvgpr_read_b32 v18, a3
	v_mov_b32_e32 v17, v19
	v_pk_mul_f32 v[30:31], v[30:31], v[42:43]
	ds_write2_b64 v18, v[20:21], v[22:23] offset1:13
	ds_write_b64 v18, v[16:17] offset:208
	v_pk_fma_f32 v[16:17], v[72:73], v[46:47], v[28:29] op_sel:[0,0,1] op_sel_hi:[1,1,0]
	v_pk_fma_f32 v[18:19], v[72:73], v[46:47], v[28:29] op_sel:[0,0,1] op_sel_hi:[1,1,0] neg_lo:[0,0,1] neg_hi:[0,0,1]
	v_pk_fma_f32 v[20:21], v[78:79], v[42:43], v[30:31] op_sel:[0,0,1] op_sel_hi:[1,1,0] neg_lo:[0,0,1] neg_hi:[0,0,1]
	v_mov_b32_e32 v17, v19
	v_pk_fma_f32 v[18:19], v[78:79], v[42:43], v[30:31] op_sel:[0,0,1] op_sel_hi:[1,1,0]
	v_mov_b32_e32 v34, v116
	v_mov_b32_e32 v19, v21
	v_pk_add_f32 v[20:21], v[38:39], v[16:17]
	v_pk_add_f32 v[22:23], v[16:17], v[18:19]
	v_pk_add_f32 v[16:17], v[16:17], v[18:19] neg_lo:[0,1] neg_hi:[0,1]
	v_pk_fma_f32 v[22:23], v[22:23], 0.5, v[38:39] op_sel_hi:[1,0,1] neg_lo:[1,0,0] neg_hi:[1,0,0]
	v_pk_mul_f32 v[16:17], v[16:17], s[0:1] op_sel_hi:[1,0]
	v_pk_add_f32 v[20:21], v[20:21], v[18:19]
	v_pk_add_f32 v[18:19], v[22:23], v[16:17] op_sel:[0,1] op_sel_hi:[1,0] neg_lo:[0,1] neg_hi:[0,1]
	v_pk_add_f32 v[16:17], v[22:23], v[16:17] op_sel:[0,1] op_sel_hi:[1,0]
	v_mov_b32_e32 v35, v116
	v_mov_b32_e32 v116, v117
	;; [unrolled: 1-line block ×20, first 2 shown]
	v_add_u32_e32 v143, 0x618, v101
	v_add_u32_e32 v142, 0x750, v101
	v_mov_b32_e32 v22, v18
	v_mov_b32_e32 v23, v17
	v_accvgpr_read_b32 v18, a4
	v_mov_b32_e32 v17, v19
	ds_write2_b64 v18, v[20:21], v[22:23] offset1:13
	ds_write_b64 v18, v[16:17] offset:208
	s_and_saveexec_b64 s[6:7], s[2:3]
	s_cbranch_execz .LBB0_21
; %bb.20:
	v_accvgpr_read_b32 v20, a0
	v_accvgpr_read_b32 v21, a5
	v_pk_mul_f32 v[16:17], v[0:1], v[132:133] op_sel:[0,1]
	v_add_u32_sdwa v20, v21, v20 dst_sel:DWORD dst_unused:UNUSED_PAD src0_sel:DWORD src1_sel:BYTE_0
	v_pk_mul_f32 v[18:19], v[2:3], v[130:131] op_sel:[0,1]
	v_lshl_add_u32 v22, v20, 3, v191
	v_pk_fma_f32 v[20:21], v[0:1], v[132:133], v[16:17] op_sel:[0,0,1] op_sel_hi:[1,1,0]
	v_pk_fma_f32 v[0:1], v[0:1], v[132:133], v[16:17] op_sel:[0,0,1] op_sel_hi:[1,0,0] neg_lo:[1,0,0] neg_hi:[1,0,0]
	s_nop 0
	v_mov_b32_e32 v21, v1
	v_pk_fma_f32 v[0:1], v[2:3], v[130:131], v[18:19] op_sel:[0,0,1] op_sel_hi:[1,1,0]
	v_pk_fma_f32 v[2:3], v[2:3], v[130:131], v[18:19] op_sel:[0,0,1] op_sel_hi:[1,0,0] neg_lo:[1,0,0] neg_hi:[1,0,0]
	s_nop 0
	v_mov_b32_e32 v1, v3
	v_pk_add_f32 v[2:3], v[32:33], v[20:21]
	v_pk_add_f32 v[16:17], v[0:1], v[20:21]
	;; [unrolled: 1-line block ×3, first 2 shown]
	v_pk_add_f32 v[0:1], v[20:21], v[0:1] neg_lo:[0,1] neg_hi:[0,1]
	v_pk_fma_f32 v[16:17], -0.5, v[16:17], v[32:33] op_sel_hi:[0,1,1]
	v_pk_mul_f32 v[0:1], v[0:1], s[0:1] op_sel_hi:[1,0]
	s_nop 0
	v_pk_add_f32 v[18:19], v[16:17], v[0:1] op_sel:[0,1] op_sel_hi:[1,0] neg_lo:[0,1] neg_hi:[0,1]
	v_pk_add_f32 v[0:1], v[16:17], v[0:1] op_sel:[0,1] op_sel_hi:[1,0]
	v_mov_b32_e32 v16, v18
	v_mov_b32_e32 v17, v1
	;; [unrolled: 1-line block ×3, first 2 shown]
	ds_write2_b64 v22, v[2:3], v[16:17] offset1:13
	ds_write_b64 v22, v[0:1] offset:208
.LBB0_21:
	s_or_b64 exec, exec, s[6:7]
	v_add_u32_e32 v19, 0x400, v101
	s_waitcnt lgkmcnt(0)
	s_barrier
	ds_read2_b64 v[20:23], v101 offset0:78 offset1:117
	ds_read2_b64 v[24:27], v101 offset0:156 offset1:195
	;; [unrolled: 1-line block ×3, first 2 shown]
	v_add_u32_e32 v18, 0x800, v101
	ds_read2_b64 v[36:39], v18 offset0:134 offset1:173
	ds_read2_b64 v[40:43], v18 offset0:212 offset1:251
	;; [unrolled: 1-line block ×3, first 2 shown]
	v_mov_b32_e32 v2, v5
	s_waitcnt lgkmcnt(5)
	v_mul_f32_e32 v1, v13, v22
	s_waitcnt lgkmcnt(3)
	v_pk_mul_f32 v[52:53], v[2:3], v[28:29] op_sel:[0,1] op_sel_hi:[1,0]
	v_pk_mul_f32 v[2:3], v[4:5], v[28:29] op_sel:[0,1] op_sel_hi:[1,0]
	v_pk_mul_f32 v[32:33], v[4:5], v[28:29]
	v_mov_b32_e32 v2, v3
	v_pk_fma_f32 v[28:29], v[4:5], v[28:29], v[2:3] op_sel:[0,1,0] op_sel_hi:[1,0,1] neg_lo:[0,0,1] neg_hi:[0,0,1]
	v_mov_b32_e32 v2, v7
	s_waitcnt lgkmcnt(0)
	v_pk_mul_f32 v[56:57], v[2:3], v[44:45] op_sel:[0,1] op_sel_hi:[1,0]
	v_pk_mul_f32 v[2:3], v[6:7], v[44:45] op_sel:[0,1] op_sel_hi:[1,0]
	v_fma_f32 v58, v12, v23, -v1
	v_mul_f32_e32 v1, v11, v42
	v_mov_b32_e32 v2, v3
	v_fma_f32 v76, v10, v43, -v1
	v_pk_mul_f32 v[54:55], v[6:7], v[44:45]
	v_pk_fma_f32 v[44:45], v[6:7], v[44:45], v[2:3] op_sel:[0,1,0] op_sel_hi:[1,0,1] neg_lo:[0,0,1] neg_hi:[0,0,1]
	v_add_f32_e32 v3, v58, v76
	v_mov_b32_e32 v2, v21
	v_pk_mul_f32 v[78:79], v[12:13], v[20:21] op_sel_hi:[1,0]
	ds_read2_b64 v[48:51], v101 offset1:39
	v_pk_fma_f32 v[130:131], v[12:13], v[2:3], v[78:79] op_sel:[0,0,1] op_sel_hi:[1,1,0] neg_lo:[0,0,1] neg_hi:[0,0,1]
	v_pk_fma_f32 v[20:21], v[12:13], v[20:21], v[78:79] op_sel:[0,1,1] op_sel_hi:[1,1,0]
	v_mov_b32_e32 v2, v25
	v_mov_b32_e32 v131, v21
	v_pk_mul_f32 v[20:21], v[14:15], v[24:25] op_sel_hi:[1,0]
	v_mov_b32_e32 v55, v130
	v_pk_fma_f32 v[78:79], v[14:15], v[2:3], v[20:21] op_sel:[0,0,1] op_sel_hi:[1,1,0] neg_lo:[0,0,1] neg_hi:[0,0,1]
	v_pk_fma_f32 v[20:21], v[14:15], v[24:25], v[20:21] op_sel:[0,1,1] op_sel_hi:[1,1,0]
	v_mov_b32_e32 v2, v37
	v_mov_b32_e32 v79, v21
	v_pk_mul_f32 v[20:21], v[8:9], v[36:37] op_sel_hi:[1,0]
	v_mov_b32_e32 v33, v78
	;; [unrolled: 6-line block ×3, first 2 shown]
	v_pk_fma_f32 v[36:37], v[10:11], v[2:3], v[20:21] op_sel:[0,0,1] op_sel_hi:[1,1,0] neg_lo:[0,0,1] neg_hi:[0,0,1]
	v_pk_fma_f32 v[20:21], v[10:11], v[40:41], v[20:21] op_sel:[0,1,1] op_sel_hi:[1,1,0]
	v_mov_b32_e32 v57, v36
	v_mov_b32_e32 v37, v21
	v_pk_add_f32 v[20:21], v[130:131], v[36:37]
	v_pk_add_f32 v[40:41], v[130:131], v[36:37] neg_lo:[0,1] neg_hi:[0,1]
	v_pk_add_f32 v[132:133], v[78:79], v[24:25]
	v_pk_add_f32 v[134:135], v[78:79], v[24:25] neg_lo:[0,1] neg_hi:[0,1]
	v_pk_add_f32 v[36:37], v[54:55], v[56:57]
	v_pk_add_f32 v[24:25], v[32:33], v[52:53]
	v_mov_b32_e32 v45, v36
	v_mov_b32_e32 v29, v24
	v_pk_add_f32 v[32:33], v[44:45], v[28:29] neg_lo:[0,1] neg_hi:[0,1]
	v_mov_b32_e32 v78, v133
	v_mov_b32_e32 v79, v28
	;; [unrolled: 1-line block ×8, first 2 shown]
	s_mov_b32 s2, 0x3f08b237
	v_pk_add_f32 v[28:29], v[78:79], v[28:29]
	v_pk_add_f32 v[44:45], v[24:25], v[36:37]
	s_mov_b32 s18, 0x3d64c772
	v_pk_add_f32 v[52:53], v[52:53], v[54:55] neg_lo:[0,1] neg_hi:[0,1]
	s_mov_b32 s3, 0xbeae86e6
	v_mov_b32_e32 v54, v40
	v_mov_b32_e32 v56, v32
	v_mov_b32_e32 v57, v135
	v_mov_b32_e32 v36, v44
	v_mov_b32_e32 v79, v29
	v_mov_b32_e32 v130, v21
	v_mov_b32_e32 v131, v29
	v_mov_b32_e32 v24, v44
	s_mov_b32 s19, 0x3f4a47b2
	v_pk_add_f32 v[54:55], v[54:55], v[56:57] neg_lo:[0,1] neg_hi:[0,1]
	s_mov_b32 s12, s3
	s_mov_b32 s13, s2
	v_pk_add_f32 v[78:79], v[36:37], v[78:79] neg_lo:[0,1] neg_hi:[0,1]
	v_pk_add_f32 v[130:131], v[130:131], v[24:25] neg_lo:[0,1] neg_hi:[0,1]
	v_pk_add_f32 v[28:29], v[28:29], v[44:45]
	s_mov_b32 s20, s19
	s_mov_b32 s21, s18
	v_pk_mul_f32 v[52:53], v[52:53], s[2:3]
	v_pk_mul_f32 v[56:57], v[54:55], s[12:13]
	v_pk_add_f32 v[32:33], v[32:33], v[134:135]
	s_waitcnt lgkmcnt(0)
	v_pk_add_f32 v[44:45], v[48:49], v[28:29]
	v_pk_mul_f32 v[48:49], v[78:79], s[18:19]
	v_pk_mul_f32 v[78:79], v[130:131], s[20:21]
	v_mov_b32_e32 v24, v133
	v_mov_b32_e32 v36, v21
	;; [unrolled: 1-line block ×3, first 2 shown]
	v_pk_add_f32 v[32:33], v[32:33], v[40:41]
	s_mov_b32 s16, 0x3f955555
	v_pk_add_f32 v[40:41], v[134:135], v[40:41] neg_lo:[0,1] neg_hi:[0,1]
	s_mov_b32 s6, 0xbf5ff5aa
	v_pk_add_f32 v[20:21], v[24:25], v[36:37] neg_lo:[0,1] neg_hi:[0,1]
	s_mov_b32 s14, 0x3f3bfb3b
	v_mov_b32_e32 v24, v78
	v_mov_b32_e32 v25, v49
	;; [unrolled: 1-line block ×4, first 2 shown]
	s_mov_b32 s0, 0xbee1c552
	v_pk_fma_f32 v[28:29], v[28:29], s[16:17], v[44:45] op_sel_hi:[1,0,1] neg_lo:[1,0,0] neg_hi:[1,0,0]
	v_pk_fma_f32 v[130:131], v[130:131], s[20:21], v[48:49]
	v_pk_fma_f32 v[54:55], v[54:55], s[12:13], v[52:53]
	v_pk_fma_f32 v[24:25], v[20:21], s[14:15], v[24:25] op_sel_hi:[1,0,1] neg_lo:[1,0,1] neg_hi:[1,0,1]
	v_pk_fma_f32 v[36:37], v[40:41], s[6:7], v[36:37] op_sel_hi:[1,0,1] neg_lo:[1,0,1] neg_hi:[1,0,1]
	v_pk_add_f32 v[130:131], v[130:131], v[28:29]
	v_pk_fma_f32 v[54:55], v[32:33], s[0:1], v[54:55] op_sel_hi:[1,0,1]
	v_pk_add_f32 v[24:25], v[24:25], v[28:29]
	v_pk_fma_f32 v[36:37], v[32:33], s[0:1], v[36:37] op_sel_hi:[1,0,1]
	v_mov_b32_e32 v49, v79
	v_mov_b32_e32 v53, v57
	v_pk_add_f32 v[136:137], v[130:131], v[54:55]
	v_pk_add_f32 v[54:55], v[130:131], v[54:55] neg_lo:[0,1] neg_hi:[0,1]
	v_pk_add_f32 v[130:131], v[24:25], v[36:37]
	v_pk_add_f32 v[24:25], v[24:25], v[36:37] neg_lo:[0,1] neg_hi:[0,1]
	v_pk_fma_f32 v[20:21], v[20:21], s[14:15], v[48:49] op_sel_hi:[1,0,1] neg_lo:[0,0,1] neg_hi:[0,0,1]
	v_pk_fma_f32 v[36:37], v[40:41], s[6:7], v[52:53] op_sel_hi:[1,0,1] neg_lo:[0,0,1] neg_hi:[0,0,1]
	v_mul_f32_e32 v73, v15, v27
	v_pk_add_f32 v[20:21], v[20:21], v[28:29]
	v_pk_fma_f32 v[28:29], v[32:33], s[0:1], v[36:37] op_sel_hi:[1,0,1]
	v_fmac_f32_e32 v73, v14, v26
	v_pk_add_f32 v[32:33], v[20:21], v[28:29] neg_lo:[0,1] neg_hi:[0,1]
	v_pk_add_f32 v[20:21], v[20:21], v[28:29]
	v_mov_b32_e32 v29, v14
	v_mov_b32_e32 v14, v5
	;; [unrolled: 1-line block ×4, first 2 shown]
	v_mul_f32_e32 v75, v9, v39
	v_mov_b32_e32 v28, v4
	v_mov_b32_e32 v36, v30
	;; [unrolled: 1-line block ×3, first 2 shown]
	v_pk_mul_f32 v[14:15], v[14:15], v[40:41]
	v_fmac_f32_e32 v75, v8, v38
	v_pk_fma_f32 v[26:27], v[4:5], v[30:31], v[14:15]
	v_pk_fma_f32 v[14:15], v[28:29], v[36:37], v[14:15] neg_lo:[0,0,1] neg_hi:[0,0,1]
	v_mov_b32_e32 v29, v31
	v_mov_b32_e32 v4, v13
	;; [unrolled: 1-line block ×9, first 2 shown]
	v_pk_mul_f32 v[4:5], v[4:5], v[12:13]
	v_pk_mul_f32 v[8:9], v[8:9], v[30:31]
	v_pk_fma_f32 v[12:13], v[114:115], v[28:29], v[4:5]
	v_pk_fma_f32 v[4:5], v[114:115], v[28:29], v[4:5] neg_lo:[0,0,1] neg_hi:[0,0,1]
	v_mov_b32_e32 v22, v6
	v_mov_b32_e32 v28, v46
	;; [unrolled: 1-line block ×3, first 2 shown]
	v_pk_fma_f32 v[30:31], v[6:7], v[46:47], v[8:9]
	v_mov_b32_e32 v6, v11
	v_mov_b32_e32 v10, v43
	;; [unrolled: 1-line block ×3, first 2 shown]
	v_pk_fma_f32 v[8:9], v[22:23], v[28:29], v[8:9] neg_lo:[0,0,1] neg_hi:[0,0,1]
	v_mov_b32_e32 v22, v42
	v_mov_b32_e32 v23, v47
	v_pk_mul_f32 v[6:7], v[6:7], v[10:11]
	v_mov_b32_e32 v27, v15
	v_pk_fma_f32 v[10:11], v[112:113], v[22:23], v[6:7]
	v_pk_fma_f32 v[6:7], v[112:113], v[22:23], v[6:7] neg_lo:[0,0,1] neg_hi:[0,0,1]
	v_mov_b32_e32 v13, v5
	v_mov_b32_e32 v31, v9
	;; [unrolled: 1-line block ×3, first 2 shown]
	v_add_f32_e32 v16, v73, v75
	v_mov_b32_e32 v59, v12
	v_mov_b32_e32 v77, v10
	;; [unrolled: 1-line block ×4, first 2 shown]
	v_pk_add_f32 v[14:15], v[26:27], v[30:31]
	v_pk_add_f32 v[10:11], v[12:13], v[10:11]
	v_mov_b32_e32 v6, v7
	v_mov_b32_e32 v7, v30
	v_mov_b32_e32 v4, v5
	v_mov_b32_e32 v5, v26
	v_pk_add_f32 v[22:23], v[58:59], v[76:77] neg_lo:[0,1] neg_hi:[0,1]
	v_pk_add_f32 v[8:9], v[72:73], v[74:75] neg_lo:[0,1] neg_hi:[0,1]
	;; [unrolled: 1-line block ×3, first 2 shown]
	v_mov_b32_e32 v17, v15
	v_mov_b32_e32 v2, v10
	;; [unrolled: 1-line block ×6, first 2 shown]
	v_pk_add_f32 v[6:7], v[16:17], v[2:3]
	v_pk_add_f32 v[12:13], v[12:13], v[26:27] neg_lo:[0,1] neg_hi:[0,1]
	v_pk_add_f32 v[26:27], v[10:11], v[14:15] neg_lo:[0,1] neg_hi:[0,1]
	v_mov_b32_e32 v30, v4
	v_mov_b32_e32 v31, v23
	;; [unrolled: 1-line block ×5, first 2 shown]
	v_pk_add_f32 v[28:29], v[4:5], v[8:9]
	v_pk_add_f32 v[30:31], v[30:31], v[36:37] neg_lo:[0,1] neg_hi:[0,1]
	v_mov_b32_e32 v36, v22
	v_mov_b32_e32 v5, v9
	v_pk_add_f32 v[6:7], v[14:15], v[6:7]
	v_pk_add_f32 v[4:5], v[36:37], v[4:5] neg_lo:[0,1] neg_hi:[0,1]
	v_pk_add_f32 v[14:15], v[50:51], v[6:7]
	v_pk_mul_f32 v[12:13], v[12:13], s[18:19]
	v_pk_mul_f32 v[30:31], v[30:31], s[2:3]
	v_pk_add_f32 v[10:11], v[28:29], v[22:23]
	v_pk_mul_f32 v[28:29], v[26:27], s[20:21]
	v_pk_mul_f32 v[36:37], v[4:5], s[12:13]
	v_pk_fma_f32 v[6:7], v[6:7], s[16:17], v[14:15] op_sel_hi:[1,0,1] neg_lo:[1,0,0] neg_hi:[1,0,0]
	v_pk_fma_f32 v[26:27], v[26:27], s[20:21], v[12:13]
	v_pk_fma_f32 v[4:5], v[4:5], s[12:13], v[30:31]
	v_pk_add_f32 v[26:27], v[26:27], v[6:7]
	v_pk_fma_f32 v[4:5], v[10:11], s[0:1], v[4:5] op_sel_hi:[1,0,1]
	s_nop 0
	v_pk_add_f32 v[38:39], v[26:27], v[4:5] neg_lo:[0,1] neg_hi:[0,1]
	v_pk_add_f32 v[4:5], v[26:27], v[4:5]
	v_mov_b32_e32 v26, v136
	v_mov_b32_e32 v27, v55
	s_barrier
	ds_write2_b64 v101, v[44:45], v[26:27] offset1:39
	v_mov_b32_e32 v27, v25
	v_mov_b32_e32 v41, v21
	;; [unrolled: 1-line block ×4, first 2 shown]
	ds_write2_b64 v101, v[20:21], v[24:25] offset0:156 offset1:195
	v_pk_add_f32 v[2:3], v[16:17], v[2:3] neg_lo:[0,1] neg_hi:[0,1]
	v_pk_add_f32 v[8:9], v[8:9], v[22:23] neg_lo:[0,1] neg_hi:[0,1]
	v_mov_b32_e32 v16, v28
	v_mov_b32_e32 v17, v13
	;; [unrolled: 1-line block ×6, first 2 shown]
	v_pk_fma_f32 v[16:17], v[2:3], s[14:15], v[16:17] op_sel_hi:[1,0,1] neg_lo:[1,0,1] neg_hi:[1,0,1]
	v_pk_fma_f32 v[20:21], v[8:9], s[6:7], v[20:21] op_sel_hi:[1,0,1] neg_lo:[1,0,1] neg_hi:[1,0,1]
	;; [unrolled: 1-line block ×4, first 2 shown]
	v_pk_add_f32 v[16:17], v[16:17], v[6:7]
	v_pk_fma_f32 v[20:21], v[10:11], s[0:1], v[20:21] op_sel_hi:[1,0,1]
	v_pk_add_f32 v[2:3], v[2:3], v[6:7]
	v_pk_fma_f32 v[6:7], v[10:11], s[0:1], v[8:9] op_sel_hi:[1,0,1]
	v_mov_b32_e32 v55, v137
	v_pk_add_f32 v[22:23], v[16:17], v[20:21] neg_lo:[0,1] neg_hi:[0,1]
	v_pk_add_f32 v[16:17], v[16:17], v[20:21]
	v_pk_add_f32 v[8:9], v[2:3], v[6:7]
	v_pk_add_f32 v[2:3], v[2:3], v[6:7] neg_lo:[0,1] neg_hi:[0,1]
	v_mov_b32_e32 v26, v130
	v_mov_b32_e32 v40, v32
	ds_write2_b64 v19, v[54:55], v[14:15] offset0:106 offset1:145
	v_mov_b32_e32 v14, v4
	v_mov_b32_e32 v15, v39
	;; [unrolled: 1-line block ×9, first 2 shown]
	ds_write2_b64 v101, v[26:27], v[40:41] offset0:78 offset1:117
	ds_write2_b64 v18, v[14:15], v[20:21] offset0:56 offset1:95
	;; [unrolled: 1-line block ×4, first 2 shown]
	s_waitcnt lgkmcnt(0)
	s_barrier
	ds_read2_b64 v[2:5], v19 offset0:106 offset1:145
	ds_read2_b64 v[6:9], v101 offset1:39
	ds_read2_b64 v[10:13], v18 offset0:56 offset1:95
	v_mad_u64_u32 v[16:17], s[0:1], s10, v100, 0
	s_waitcnt lgkmcnt(2)
	v_pk_mul_f32 v[14:15], v[128:129], v[4:5]
	v_mov_b32_e32 v1, s15
	v_pk_fma_f32 v[20:21], v[70:71], v[4:5], v[14:15] op_sel:[0,0,1] op_sel_hi:[1,1,0]
	v_pk_fma_f32 v[4:5], v[70:71], v[4:5], v[14:15] op_sel:[0,0,1] op_sel_hi:[1,1,0] neg_lo:[0,0,1] neg_hi:[0,0,1]
	s_waitcnt lgkmcnt(0)
	v_pk_mul_f32 v[14:15], v[124:125], v[12:13]
	v_mov_b32_e32 v21, v5
	v_pk_add_f32 v[20:21], v[6:7], v[20:21] neg_lo:[0,1] neg_hi:[0,1]
	v_pk_mul_f32 v[4:5], v[126:127], v[10:11]
	v_pk_fma_f32 v[22:23], v[6:7], 2.0, v[20:21] op_sel_hi:[1,0,1] neg_lo:[0,0,1] neg_hi:[0,0,1]
	v_pk_fma_f32 v[6:7], v[68:69], v[10:11], v[4:5] op_sel:[0,0,1] op_sel_hi:[1,1,0]
	v_pk_fma_f32 v[4:5], v[68:69], v[10:11], v[4:5] op_sel:[0,0,1] op_sel_hi:[1,1,0] neg_lo:[0,0,1] neg_hi:[0,0,1]
	v_pk_fma_f32 v[28:29], v[66:67], v[12:13], v[14:15] op_sel:[0,0,1] op_sel_hi:[1,1,0]
	v_mov_b32_e32 v7, v5
	v_pk_add_f32 v[24:25], v[8:9], v[6:7] neg_lo:[0,1] neg_hi:[0,1]
	ds_read2_b64 v[4:7], v101 offset0:78 offset1:117
	v_pk_fma_f32 v[26:27], v[8:9], 2.0, v[24:25] op_sel_hi:[1,0,1] neg_lo:[0,0,1] neg_hi:[0,0,1]
	ds_read2_b64 v[8:11], v18 offset0:134 offset1:173
	v_pk_fma_f32 v[12:13], v[66:67], v[12:13], v[14:15] op_sel:[0,0,1] op_sel_hi:[1,1,0] neg_lo:[0,0,1] neg_hi:[0,0,1]
	ds_write_b64 v101, v[22:23]
	v_mov_b32_e32 v29, v13
	s_waitcnt lgkmcnt(2)
	v_pk_add_f32 v[28:29], v[4:5], v[28:29] neg_lo:[0,1] neg_hi:[0,1]
	s_waitcnt lgkmcnt(1)
	v_pk_mul_f32 v[36:37], v[120:121], v[10:11]
	v_pk_fma_f32 v[30:31], v[4:5], 2.0, v[28:29] op_sel_hi:[1,0,1] neg_lo:[0,0,1] neg_hi:[0,0,1]
	v_pk_mul_f32 v[4:5], v[122:123], v[8:9]
	v_pk_fma_f32 v[38:39], v[62:63], v[10:11], v[36:37] op_sel:[0,0,1] op_sel_hi:[1,1,0]
	v_pk_fma_f32 v[12:13], v[64:65], v[8:9], v[4:5] op_sel:[0,0,1] op_sel_hi:[1,1,0]
	v_pk_fma_f32 v[4:5], v[64:65], v[8:9], v[4:5] op_sel:[0,0,1] op_sel_hi:[1,1,0] neg_lo:[0,0,1] neg_hi:[0,0,1]
	v_pk_fma_f32 v[10:11], v[62:63], v[10:11], v[36:37] op_sel:[0,0,1] op_sel_hi:[1,1,0] neg_lo:[0,0,1] neg_hi:[0,0,1]
	v_mov_b32_e32 v13, v5
	v_pk_add_f32 v[8:9], v[6:7], v[12:13] neg_lo:[0,1] neg_hi:[0,1]
	ds_read2_b64 v[12:15], v18 offset0:212 offset1:251
	v_pk_fma_f32 v[32:33], v[6:7], 2.0, v[8:9] op_sel_hi:[1,0,1] neg_lo:[0,0,1] neg_hi:[0,0,1]
	ds_read2_b64 v[4:7], v101 offset0:156 offset1:195
	v_mov_b32_e32 v39, v11
	v_add_u32_e32 v22, 0x800, v93
	s_waitcnt lgkmcnt(1)
	v_pk_mul_f32 v[36:37], v[118:119], v[12:13]
	s_waitcnt lgkmcnt(0)
	v_pk_add_f32 v[10:11], v[4:5], v[38:39] neg_lo:[0,1] neg_hi:[0,1]
	v_pk_fma_f32 v[38:39], v[60:61], v[12:13], v[36:37] op_sel:[0,0,1] op_sel_hi:[1,1,0]
	v_pk_fma_f32 v[12:13], v[60:61], v[12:13], v[36:37] op_sel:[0,0,1] op_sel_hi:[1,1,0] neg_lo:[0,0,1] neg_hi:[0,0,1]
	v_pk_mul_f32 v[36:37], v[116:117], v[14:15]
	v_mov_b32_e32 v39, v13
	v_pk_add_f32 v[12:13], v[6:7], v[38:39] neg_lo:[0,1] neg_hi:[0,1]
	v_pk_fma_f32 v[38:39], v[34:35], v[14:15], v[36:37] op_sel:[0,0,1] op_sel_hi:[1,1,0]
	v_pk_fma_f32 v[14:15], v[34:35], v[14:15], v[36:37] op_sel:[0,0,1] op_sel_hi:[1,1,0] neg_lo:[0,0,1] neg_hi:[0,0,1]
	v_pk_fma_f32 v[4:5], v[4:5], 2.0, v[10:11] op_sel_hi:[1,0,1] neg_lo:[0,0,1] neg_hi:[0,0,1]
	v_mov_b32_e32 v39, v15
	v_pk_add_f32 v[14:15], v[2:3], v[38:39] neg_lo:[0,1] neg_hi:[0,1]
	v_pk_fma_f32 v[6:7], v[6:7], 2.0, v[12:13] op_sel_hi:[1,0,1] neg_lo:[0,0,1] neg_hi:[0,0,1]
	v_pk_fma_f32 v[2:3], v[2:3], 2.0, v[14:15] op_sel_hi:[1,0,1] neg_lo:[0,0,1] neg_hi:[0,0,1]
	ds_write2_b64 v22, v[20:21], v[24:25] offset0:17 offset1:56
	ds_write2_b64 v93, v[26:27], v[30:31] offset0:39 offset1:78
	;; [unrolled: 1-line block ×4, first 2 shown]
	ds_write_b64 v93, v[10:11] offset:3432
	ds_write_b64 v93, v[6:7] offset:1560
	;; [unrolled: 1-line block ×5, first 2 shown]
	s_waitcnt lgkmcnt(0)
	s_barrier
	ds_read2_b64 v[2:5], v101 offset1:42
	v_mov_b32_e32 v6, v17
	v_mad_u64_u32 v[6:7], s[0:1], s11, v100, v[6:7]
	v_mov_b32_e32 v17, v6
	s_waitcnt lgkmcnt(0)
	v_mul_f32_e32 v6, v111, v3
	v_fmac_f32_e32 v6, v110, v2
	v_mul_f32_e32 v2, v111, v2
	s_mov_b32 s0, 0x1e01e01e
	v_fma_f32 v2, v110, v3, -v2
	v_cvt_f64_f32_e32 v[6:7], v6
	s_mov_b32 s1, 0x3f5e01e0
	v_cvt_f64_f32_e32 v[2:3], v2
	v_mul_f64 v[6:7], v[6:7], s[0:1]
	v_mul_f64 v[2:3], v[2:3], s[0:1]
	v_cvt_f32_f64_e32 v6, v[6:7]
	v_cvt_f32_f64_e32 v7, v[2:3]
	v_mad_u64_u32 v[2:3], s[2:3], s8, v92, 0
	v_mov_b32_e32 v8, v3
	v_mad_u64_u32 v[8:9], s[2:3], s9, v92, v[8:9]
	v_mov_b32_e32 v3, v8
	v_lshl_add_u64 v[0:1], v[16:17], 3, v[0:1]
	v_lshl_add_u64 v[8:9], v[2:3], 3, v[0:1]
	v_mul_f32_e32 v0, v109, v5
	v_fmac_f32_e32 v0, v108, v4
	v_cvt_f64_f32_e32 v[0:1], v0
	v_mul_f64 v[0:1], v[0:1], s[0:1]
	global_store_dwordx2 v[8:9], v[6:7], off
	v_cvt_f32_f64_e32 v6, v[0:1]
	v_mul_f32_e32 v0, v109, v4
	v_fma_f32 v0, v108, v5, -v0
	v_cvt_f64_f32_e32 v[0:1], v0
	v_mul_f64 v[0:1], v[0:1], s[0:1]
	v_cvt_f32_f64_e32 v7, v[0:1]
	ds_read2_b64 v[0:3], v101 offset0:84 offset1:126
	s_mul_i32 s2, s9, 42
	s_mul_hi_u32 s3, s8, 42
	s_add_i32 s3, s3, s2
	s_mul_i32 s2, s8, 42
	s_lshl_b64 s[2:3], s[2:3], 3
	v_lshl_add_u64 v[4:5], v[8:9], 0, s[2:3]
	global_store_dwordx2 v[4:5], v[6:7], off
	s_waitcnt lgkmcnt(0)
	v_mul_f32_e32 v6, v107, v1
	v_fmac_f32_e32 v6, v106, v0
	v_mul_f32_e32 v0, v107, v0
	v_fma_f32 v0, v106, v1, -v0
	v_cvt_f64_f32_e32 v[6:7], v6
	v_cvt_f64_f32_e32 v[0:1], v0
	v_mul_f64 v[6:7], v[6:7], s[0:1]
	v_mul_f64 v[0:1], v[0:1], s[0:1]
	v_cvt_f32_f64_e32 v6, v[6:7]
	v_cvt_f32_f64_e32 v7, v[0:1]
	v_mul_f32_e32 v0, v105, v3
	v_fmac_f32_e32 v0, v104, v2
	v_cvt_f64_f32_e32 v[0:1], v0
	v_lshl_add_u64 v[4:5], v[4:5], 0, s[2:3]
	v_mul_f64 v[0:1], v[0:1], s[0:1]
	global_store_dwordx2 v[4:5], v[6:7], off
	v_cvt_f32_f64_e32 v6, v[0:1]
	v_mul_f32_e32 v0, v105, v2
	v_fma_f32 v0, v104, v3, -v0
	v_cvt_f64_f32_e32 v[8:9], v0
	ds_read2_b64 v[0:3], v101 offset0:168 offset1:210
	v_mul_f64 v[8:9], v[8:9], s[0:1]
	v_cvt_f32_f64_e32 v7, v[8:9]
	v_lshl_add_u64 v[4:5], v[4:5], 0, s[2:3]
	global_store_dwordx2 v[4:5], v[6:7], off
	s_waitcnt lgkmcnt(0)
	v_mul_f32_e32 v6, v103, v1
	v_fmac_f32_e32 v6, v102, v0
	v_mul_f32_e32 v0, v103, v0
	v_fma_f32 v0, v102, v1, -v0
	v_cvt_f64_f32_e32 v[6:7], v6
	v_cvt_f64_f32_e32 v[0:1], v0
	v_mul_f64 v[6:7], v[6:7], s[0:1]
	v_mul_f64 v[0:1], v[0:1], s[0:1]
	v_cvt_f32_f64_e32 v6, v[6:7]
	v_cvt_f32_f64_e32 v7, v[0:1]
	v_mul_f32_e32 v0, v99, v3
	v_fmac_f32_e32 v0, v98, v2
	v_cvt_f64_f32_e32 v[0:1], v0
	v_lshl_add_u64 v[4:5], v[4:5], 0, s[2:3]
	v_mul_f64 v[0:1], v[0:1], s[0:1]
	global_store_dwordx2 v[4:5], v[6:7], off
	v_cvt_f32_f64_e32 v6, v[0:1]
	v_mul_f32_e32 v0, v99, v2
	v_fma_f32 v0, v98, v3, -v0
	v_cvt_f64_f32_e32 v[8:9], v0
	ds_read2_b64 v[0:3], v19 offset0:124 offset1:166
	v_mul_f64 v[8:9], v[8:9], s[0:1]
	v_cvt_f32_f64_e32 v7, v[8:9]
	;; [unrolled: 26-line block ×4, first 2 shown]
	v_lshl_add_u64 v[4:5], v[4:5], 0, s[2:3]
	global_store_dwordx2 v[4:5], v[6:7], off
	s_waitcnt lgkmcnt(0)
	v_mul_f32_e32 v6, v87, v1
	v_fmac_f32_e32 v6, v86, v0
	v_mul_f32_e32 v0, v87, v0
	v_fma_f32 v0, v86, v1, -v0
	v_cvt_f64_f32_e32 v[6:7], v6
	v_cvt_f64_f32_e32 v[0:1], v0
	v_mul_f64 v[6:7], v[6:7], s[0:1]
	v_mul_f64 v[0:1], v[0:1], s[0:1]
	v_cvt_f32_f64_e32 v6, v[6:7]
	v_cvt_f32_f64_e32 v7, v[0:1]
	v_lshl_add_u64 v[0:1], v[4:5], 0, s[2:3]
	global_store_dwordx2 v[0:1], v[6:7], off
	v_mul_f32_e32 v4, v85, v3
	ds_read_b64 v[6:7], v101 offset:4032
	v_fmac_f32_e32 v4, v84, v2
	v_mul_f32_e32 v2, v85, v2
	v_fma_f32 v2, v84, v3, -v2
	v_cvt_f64_f32_e32 v[4:5], v4
	v_cvt_f64_f32_e32 v[2:3], v2
	v_mul_f64 v[4:5], v[4:5], s[0:1]
	v_mul_f64 v[2:3], v[2:3], s[0:1]
	v_cvt_f32_f64_e32 v4, v[4:5]
	v_cvt_f32_f64_e32 v5, v[2:3]
	s_waitcnt lgkmcnt(0)
	v_mul_f32_e32 v2, v83, v7
	v_fmac_f32_e32 v2, v82, v6
	v_cvt_f64_f32_e32 v[2:3], v2
	v_mul_f64 v[2:3], v[2:3], s[0:1]
	v_cvt_f32_f64_e32 v2, v[2:3]
	v_mul_f32_e32 v3, v83, v6
	v_lshl_add_u64 v[0:1], v[0:1], 0, s[2:3]
	v_fma_f32 v3, v82, v7, -v3
	global_store_dwordx2 v[0:1], v[4:5], off
	v_cvt_f64_f32_e32 v[4:5], v3
	v_mul_f64 v[4:5], v[4:5], s[0:1]
	v_cvt_f32_f64_e32 v3, v[4:5]
	v_lshl_add_u64 v[0:1], v[0:1], 0, s[2:3]
	global_store_dwordx2 v[0:1], v[2:3], off
	s_and_b64 exec, exec, s[4:5]
	s_cbranch_execz .LBB0_23
; %bb.22:
	global_load_dwordx2 v[2:3], v[80:81], off offset:312
	ds_read_b64 v[4:5], v93 offset:312
	v_mov_b32_e32 v6, 0xfffff178
	v_mad_u64_u32 v[6:7], s[4:5], s8, v6, v[0:1]
	s_mul_i32 s6, s9, 0xfffff178
	s_sub_i32 s4, s6, s8
	v_add_u32_e32 v7, s4, v7
	s_movk_i32 s4, 0x1000
	s_waitcnt vmcnt(0) lgkmcnt(0)
	v_mul_f32_e32 v0, v5, v3
	v_mul_f32_e32 v1, v4, v3
	v_fmac_f32_e32 v0, v4, v2
	v_fma_f32 v2, v2, v5, -v1
	v_cvt_f64_f32_e32 v[0:1], v0
	v_cvt_f64_f32_e32 v[2:3], v2
	v_mul_f64 v[0:1], v[0:1], s[0:1]
	v_mul_f64 v[2:3], v[2:3], s[0:1]
	v_cvt_f32_f64_e32 v0, v[0:1]
	v_cvt_f32_f64_e32 v1, v[2:3]
	global_store_dwordx2 v[6:7], v[0:1], off
	global_load_dwordx2 v[4:5], v[80:81], off offset:648
	ds_read2_b64 v[0:3], v101 offset0:81 offset1:123
	v_lshl_add_u64 v[6:7], v[6:7], 0, s[2:3]
	s_waitcnt vmcnt(0) lgkmcnt(0)
	v_mul_f32_e32 v8, v1, v5
	v_mul_f32_e32 v5, v0, v5
	v_fmac_f32_e32 v8, v0, v4
	v_fma_f32 v4, v4, v1, -v5
	v_cvt_f64_f32_e32 v[0:1], v8
	v_cvt_f64_f32_e32 v[4:5], v4
	v_mul_f64 v[0:1], v[0:1], s[0:1]
	v_mul_f64 v[4:5], v[4:5], s[0:1]
	v_cvt_f32_f64_e32 v0, v[0:1]
	v_cvt_f32_f64_e32 v1, v[4:5]
	global_store_dwordx2 v[6:7], v[0:1], off
	global_load_dwordx2 v[0:1], v[80:81], off offset:984
	v_lshl_add_u64 v[4:5], v[6:7], 0, s[2:3]
	s_waitcnt vmcnt(0)
	v_mul_f32_e32 v6, v3, v1
	v_mul_f32_e32 v1, v2, v1
	v_fmac_f32_e32 v6, v2, v0
	v_fma_f32 v2, v0, v3, -v1
	v_cvt_f64_f32_e32 v[0:1], v6
	v_cvt_f64_f32_e32 v[2:3], v2
	v_mul_f64 v[0:1], v[0:1], s[0:1]
	v_mul_f64 v[2:3], v[2:3], s[0:1]
	v_cvt_f32_f64_e32 v0, v[0:1]
	v_cvt_f32_f64_e32 v1, v[2:3]
	global_store_dwordx2 v[4:5], v[0:1], off
	global_load_dwordx2 v[6:7], v[80:81], off offset:1320
	ds_read2_b64 v[0:3], v101 offset0:165 offset1:207
	v_lshl_add_u64 v[4:5], v[4:5], 0, s[2:3]
	s_waitcnt vmcnt(0) lgkmcnt(0)
	v_mul_f32_e32 v8, v1, v7
	v_mul_f32_e32 v7, v0, v7
	v_fmac_f32_e32 v8, v0, v6
	v_fma_f32 v6, v6, v1, -v7
	v_cvt_f64_f32_e32 v[0:1], v8
	v_cvt_f64_f32_e32 v[6:7], v6
	v_mul_f64 v[0:1], v[0:1], s[0:1]
	v_mul_f64 v[6:7], v[6:7], s[0:1]
	v_cvt_f32_f64_e32 v0, v[0:1]
	v_cvt_f32_f64_e32 v1, v[6:7]
	global_store_dwordx2 v[4:5], v[0:1], off
	global_load_dwordx2 v[0:1], v[80:81], off offset:1656
	v_lshl_add_u64 v[4:5], v[4:5], 0, s[2:3]
	s_waitcnt vmcnt(0)
	;; [unrolled: 29-line block ×4, first 2 shown]
	v_mul_f32_e32 v6, v3, v1
	v_mul_f32_e32 v1, v2, v1
	v_fmac_f32_e32 v6, v2, v0
	v_fma_f32 v2, v0, v3, -v1
	v_cvt_f64_f32_e32 v[0:1], v6
	v_cvt_f64_f32_e32 v[2:3], v2
	v_mul_f64 v[0:1], v[0:1], s[0:1]
	v_mul_f64 v[2:3], v[2:3], s[0:1]
	v_cvt_f32_f64_e32 v0, v[0:1]
	v_cvt_f32_f64_e32 v1, v[2:3]
	global_store_dwordx2 v[4:5], v[0:1], off
	global_load_dwordx2 v[6:7], v[80:81], off offset:3336
	ds_read2_b64 v[0:3], v18 offset0:161 offset1:203
	v_lshl_add_u64 v[4:5], v[4:5], 0, s[2:3]
	s_waitcnt vmcnt(0) lgkmcnt(0)
	v_mul_f32_e32 v8, v1, v7
	v_mul_f32_e32 v7, v0, v7
	v_fmac_f32_e32 v8, v0, v6
	v_fma_f32 v6, v6, v1, -v7
	v_cvt_f64_f32_e32 v[0:1], v8
	v_cvt_f64_f32_e32 v[6:7], v6
	v_mul_f64 v[0:1], v[0:1], s[0:1]
	v_mul_f64 v[6:7], v[6:7], s[0:1]
	v_cvt_f32_f64_e32 v0, v[0:1]
	v_cvt_f32_f64_e32 v1, v[6:7]
	global_store_dwordx2 v[4:5], v[0:1], off
	global_load_dwordx2 v[0:1], v[80:81], off offset:3672
	v_lshl_add_u64 v[4:5], v[4:5], 0, s[2:3]
	v_add_co_u32_e32 v8, vcc, s4, v80
	s_waitcnt vmcnt(0)
	v_mul_f32_e32 v6, v3, v1
	v_mul_f32_e32 v1, v2, v1
	v_fmac_f32_e32 v6, v2, v0
	v_fma_f32 v2, v0, v3, -v1
	v_cvt_f64_f32_e32 v[0:1], v6
	v_cvt_f64_f32_e32 v[2:3], v2
	v_mul_f64 v[0:1], v[0:1], s[0:1]
	v_mul_f64 v[2:3], v[2:3], s[0:1]
	v_cvt_f32_f64_e32 v0, v[0:1]
	v_cvt_f32_f64_e32 v1, v[2:3]
	global_store_dwordx2 v[4:5], v[0:1], off
	global_load_dwordx2 v[6:7], v[80:81], off offset:4008
	v_add_u32_e32 v0, 0xc00, v101
	ds_read2_b64 v[0:3], v0 offset0:117 offset1:159
	v_lshl_add_u64 v[4:5], v[4:5], 0, s[2:3]
	v_addc_co_u32_e32 v9, vcc, 0, v81, vcc
	s_waitcnt vmcnt(0) lgkmcnt(0)
	v_mul_f32_e32 v10, v1, v7
	v_mul_f32_e32 v7, v0, v7
	v_fmac_f32_e32 v10, v0, v6
	v_fma_f32 v6, v6, v1, -v7
	v_cvt_f64_f32_e32 v[0:1], v10
	v_cvt_f64_f32_e32 v[6:7], v6
	v_mul_f64 v[0:1], v[0:1], s[0:1]
	v_mul_f64 v[6:7], v[6:7], s[0:1]
	v_cvt_f32_f64_e32 v0, v[0:1]
	v_cvt_f32_f64_e32 v1, v[6:7]
	global_store_dwordx2 v[4:5], v[0:1], off
	global_load_dwordx2 v[0:1], v[8:9], off offset:248
	s_waitcnt vmcnt(0)
	v_mul_f32_e32 v6, v3, v1
	v_mul_f32_e32 v1, v2, v1
	v_fmac_f32_e32 v6, v2, v0
	v_fma_f32 v2, v0, v3, -v1
	v_cvt_f64_f32_e32 v[0:1], v6
	v_cvt_f64_f32_e32 v[2:3], v2
	v_mul_f64 v[0:1], v[0:1], s[0:1]
	v_mul_f64 v[2:3], v[2:3], s[0:1]
	v_cvt_f32_f64_e32 v0, v[0:1]
	v_cvt_f32_f64_e32 v1, v[2:3]
	v_lshl_add_u64 v[2:3], v[4:5], 0, s[2:3]
	global_store_dwordx2 v[2:3], v[0:1], off
.LBB0_23:
	s_endpgm
	.section	.rodata,"a",@progbits
	.p2align	6, 0x0
	.amdhsa_kernel bluestein_single_fwd_len546_dim1_sp_op_CI_CI
		.amdhsa_group_segment_fixed_size 13104
		.amdhsa_private_segment_fixed_size 0
		.amdhsa_kernarg_size 104
		.amdhsa_user_sgpr_count 2
		.amdhsa_user_sgpr_dispatch_ptr 0
		.amdhsa_user_sgpr_queue_ptr 0
		.amdhsa_user_sgpr_kernarg_segment_ptr 1
		.amdhsa_user_sgpr_dispatch_id 0
		.amdhsa_user_sgpr_kernarg_preload_length 0
		.amdhsa_user_sgpr_kernarg_preload_offset 0
		.amdhsa_user_sgpr_private_segment_size 0
		.amdhsa_uses_dynamic_stack 0
		.amdhsa_enable_private_segment 0
		.amdhsa_system_sgpr_workgroup_id_x 1
		.amdhsa_system_sgpr_workgroup_id_y 0
		.amdhsa_system_sgpr_workgroup_id_z 0
		.amdhsa_system_sgpr_workgroup_info 0
		.amdhsa_system_vgpr_workitem_id 0
		.amdhsa_next_free_vgpr 274
		.amdhsa_next_free_sgpr 48
		.amdhsa_accum_offset 256
		.amdhsa_reserve_vcc 1
		.amdhsa_float_round_mode_32 0
		.amdhsa_float_round_mode_16_64 0
		.amdhsa_float_denorm_mode_32 3
		.amdhsa_float_denorm_mode_16_64 3
		.amdhsa_dx10_clamp 1
		.amdhsa_ieee_mode 1
		.amdhsa_fp16_overflow 0
		.amdhsa_tg_split 0
		.amdhsa_exception_fp_ieee_invalid_op 0
		.amdhsa_exception_fp_denorm_src 0
		.amdhsa_exception_fp_ieee_div_zero 0
		.amdhsa_exception_fp_ieee_overflow 0
		.amdhsa_exception_fp_ieee_underflow 0
		.amdhsa_exception_fp_ieee_inexact 0
		.amdhsa_exception_int_div_zero 0
	.end_amdhsa_kernel
	.text
.Lfunc_end0:
	.size	bluestein_single_fwd_len546_dim1_sp_op_CI_CI, .Lfunc_end0-bluestein_single_fwd_len546_dim1_sp_op_CI_CI
                                        ; -- End function
	.section	.AMDGPU.csdata,"",@progbits
; Kernel info:
; codeLenInByte = 21496
; NumSgprs: 54
; NumVgprs: 256
; NumAgprs: 18
; TotalNumVgprs: 274
; ScratchSize: 0
; MemoryBound: 0
; FloatMode: 240
; IeeeMode: 1
; LDSByteSize: 13104 bytes/workgroup (compile time only)
; SGPRBlocks: 6
; VGPRBlocks: 34
; NumSGPRsForWavesPerEU: 54
; NumVGPRsForWavesPerEU: 274
; AccumOffset: 256
; Occupancy: 1
; WaveLimiterHint : 1
; COMPUTE_PGM_RSRC2:SCRATCH_EN: 0
; COMPUTE_PGM_RSRC2:USER_SGPR: 2
; COMPUTE_PGM_RSRC2:TRAP_HANDLER: 0
; COMPUTE_PGM_RSRC2:TGID_X_EN: 1
; COMPUTE_PGM_RSRC2:TGID_Y_EN: 0
; COMPUTE_PGM_RSRC2:TGID_Z_EN: 0
; COMPUTE_PGM_RSRC2:TIDIG_COMP_CNT: 0
; COMPUTE_PGM_RSRC3_GFX90A:ACCUM_OFFSET: 63
; COMPUTE_PGM_RSRC3_GFX90A:TG_SPLIT: 0
	.text
	.p2alignl 6, 3212836864
	.fill 256, 4, 3212836864
	.type	__hip_cuid_c5467c18fd0e6150,@object ; @__hip_cuid_c5467c18fd0e6150
	.section	.bss,"aw",@nobits
	.globl	__hip_cuid_c5467c18fd0e6150
__hip_cuid_c5467c18fd0e6150:
	.byte	0                               ; 0x0
	.size	__hip_cuid_c5467c18fd0e6150, 1

	.ident	"AMD clang version 19.0.0git (https://github.com/RadeonOpenCompute/llvm-project roc-6.4.0 25133 c7fe45cf4b819c5991fe208aaa96edf142730f1d)"
	.section	".note.GNU-stack","",@progbits
	.addrsig
	.addrsig_sym __hip_cuid_c5467c18fd0e6150
	.amdgpu_metadata
---
amdhsa.kernels:
  - .agpr_count:     18
    .args:
      - .actual_access:  read_only
        .address_space:  global
        .offset:         0
        .size:           8
        .value_kind:     global_buffer
      - .actual_access:  read_only
        .address_space:  global
        .offset:         8
        .size:           8
        .value_kind:     global_buffer
      - .actual_access:  read_only
        .address_space:  global
        .offset:         16
        .size:           8
        .value_kind:     global_buffer
      - .actual_access:  read_only
        .address_space:  global
        .offset:         24
        .size:           8
        .value_kind:     global_buffer
      - .actual_access:  read_only
        .address_space:  global
        .offset:         32
        .size:           8
        .value_kind:     global_buffer
      - .offset:         40
        .size:           8
        .value_kind:     by_value
      - .address_space:  global
        .offset:         48
        .size:           8
        .value_kind:     global_buffer
      - .address_space:  global
        .offset:         56
        .size:           8
        .value_kind:     global_buffer
      - .address_space:  global
        .offset:         64
        .size:           8
        .value_kind:     global_buffer
      - .address_space:  global
        .offset:         72
        .size:           8
        .value_kind:     global_buffer
      - .offset:         80
        .size:           4
        .value_kind:     by_value
      - .address_space:  global
        .offset:         88
        .size:           8
        .value_kind:     global_buffer
      - .address_space:  global
        .offset:         96
        .size:           8
        .value_kind:     global_buffer
    .group_segment_fixed_size: 13104
    .kernarg_segment_align: 8
    .kernarg_segment_size: 104
    .language:       OpenCL C
    .language_version:
      - 2
      - 0
    .max_flat_workgroup_size: 117
    .name:           bluestein_single_fwd_len546_dim1_sp_op_CI_CI
    .private_segment_fixed_size: 0
    .sgpr_count:     54
    .sgpr_spill_count: 0
    .symbol:         bluestein_single_fwd_len546_dim1_sp_op_CI_CI.kd
    .uniform_work_group_size: 1
    .uses_dynamic_stack: false
    .vgpr_count:     274
    .vgpr_spill_count: 0
    .wavefront_size: 64
amdhsa.target:   amdgcn-amd-amdhsa--gfx950
amdhsa.version:
  - 1
  - 2
...

	.end_amdgpu_metadata
